;; amdgpu-corpus repo=ROCm/rocFFT kind=compiled arch=gfx1030 opt=O3
	.text
	.amdgcn_target "amdgcn-amd-amdhsa--gfx1030"
	.amdhsa_code_object_version 6
	.protected	bluestein_single_back_len3456_dim1_sp_op_CI_CI ; -- Begin function bluestein_single_back_len3456_dim1_sp_op_CI_CI
	.globl	bluestein_single_back_len3456_dim1_sp_op_CI_CI
	.p2align	8
	.type	bluestein_single_back_len3456_dim1_sp_op_CI_CI,@function
bluestein_single_back_len3456_dim1_sp_op_CI_CI: ; @bluestein_single_back_len3456_dim1_sp_op_CI_CI
; %bb.0:
	s_load_dwordx4 s[12:15], s[4:5], 0x28
	v_mul_u32_u24_e32 v1, 0x1c8, v0
	s_mov_b64 s[22:23], s[2:3]
	s_mov_b64 s[20:21], s[0:1]
	v_mov_b32_e32 v3, 0
	s_add_u32 s20, s20, s7
	v_lshrrev_b32_e32 v1, 16, v1
	s_addc_u32 s21, s21, 0
	s_mov_b32 s0, exec_lo
	v_add_nc_u32_e32 v2, s6, v1
	s_waitcnt lgkmcnt(0)
	v_cmpx_gt_u64_e64 s[12:13], v[2:3]
	s_cbranch_execz .LBB0_2
; %bb.1:
	s_clause 0x1
	s_load_dwordx4 s[0:3], s[4:5], 0x18
	s_load_dwordx4 s[8:11], s[4:5], 0x0
	v_mov_b32_e32 v6, v2
	v_mul_lo_u16 v1, 0x90, v1
	v_mov_b32_e32 v87, 3
	s_load_dwordx2 s[4:5], s[4:5], 0x38
	v_sub_nc_u16 v86, v0, v1
	v_and_b32_e32 v4, 0xffff, v86
	v_or_b32_e32 v5, 0x900, v4
	v_lshlrev_b32_e32 v203, 3, v4
	s_waitcnt lgkmcnt(0)
	s_load_dwordx4 s[16:19], s[0:1], 0x0
	buffer_store_dword v6, off, s[20:23], 0 ; 4-byte Folded Spill
	buffer_store_dword v7, off, s[20:23], 0 offset:4 ; 4-byte Folded Spill
	v_mov_b32_e32 v85, v4
	v_lshlrev_b32_e32 v10, 3, v5
	v_mov_b32_e32 v7, v5
	v_add_co_u32 v22, s0, s8, v203
	v_add_co_ci_u32_e64 v23, null, s9, 0, s0
	v_mov_b32_e32 v9, v7
	s_add_u32 s6, s8, 0x6c00
	s_addc_u32 s7, s9, 0
	buffer_store_dword v10, off, s[20:23], 0 offset:84 ; 4-byte Folded Spill
	v_add_nc_u32_e32 v255, 0x800, v203
	buffer_store_dword v9, off, s[20:23], 0 offset:8 ; 4-byte Folded Spill
	s_clause 0x1
	global_load_dwordx2 v[55:56], v203, s[8:9]
	global_load_dwordx2 v[59:60], v203, s[8:9] offset:1152
	v_add_nc_u32_e32 v215, 0x2400, v203
	v_add_nc_u32_e32 v204, 0x4800, v203
	;; [unrolled: 1-line block ×4, first 2 shown]
	s_waitcnt lgkmcnt(0)
	v_mad_u64_u32 v[0:1], null, s18, v2, 0
	v_mad_u64_u32 v[2:3], null, s16, v4, 0
	s_mul_i32 s0, s17, 0x1200
	s_mul_hi_u32 s12, s16, 0x1200
	s_mul_i32 s1, s16, 0x1200
	s_add_i32 s0, s12, s0
	s_mul_i32 s12, s17, 0xffffaa80
	v_add_nc_u32_e32 v242, 0x2c00, v203
	v_add_nc_u32_e32 v239, 0x1800, v203
	;; [unrolled: 1-line block ×4, first 2 shown]
	v_add_co_u32 v92, null, 0x90, v85
	v_add_co_u32 v72, null, 0x1b0, v85
	v_mad_u64_u32 v[4:5], null, s19, v6, v[1:2]
	v_mad_u64_u32 v[5:6], null, s16, v7, 0
	;; [unrolled: 1-line block ×3, first 2 shown]
	v_mov_b32_e32 v1, v4
	v_mov_b32_e32 v4, v6
	v_lshlrev_b64 v[0:1], 3, v[0:1]
	v_mov_b32_e32 v3, v7
	v_mad_u64_u32 v[6:7], null, s17, v9, v[4:5]
	v_add_co_u32 v7, vcc_lo, s14, v0
	v_lshlrev_b64 v[2:3], 3, v[2:3]
	v_add_co_ci_u32_e32 v8, vcc_lo, s15, v1, vcc_lo
	v_add_co_u32 v0, vcc_lo, v7, v2
	v_add_co_ci_u32_e32 v1, vcc_lo, v8, v3, vcc_lo
	v_lshlrev_b64 v[2:3], 3, v[5:6]
	v_add_co_u32 v4, vcc_lo, v0, s1
	v_add_co_ci_u32_e32 v5, vcc_lo, s0, v1, vcc_lo
	v_add_co_u32 v2, vcc_lo, v7, v2
	v_add_co_ci_u32_e32 v3, vcc_lo, v8, v3, vcc_lo
	v_add_co_u32 v18, vcc_lo, v4, s1
	v_add_co_ci_u32_e32 v19, vcc_lo, s0, v5, vcc_lo
	global_load_dwordx2 v[6:7], v[0:1], off
	v_add_co_u32 v20, vcc_lo, v18, s1
	v_add_co_ci_u32_e32 v21, vcc_lo, s0, v19, vcc_lo
	v_add_co_u32 v14, vcc_lo, 0x1000, v22
	v_add_co_ci_u32_e32 v15, vcc_lo, 0, v23, vcc_lo
	global_load_dwordx2 v[49:50], v10, s[8:9]
	global_load_dwordx2 v[10:11], v[2:3], off
	global_load_dwordx2 v[57:58], v[14:15], off offset:512
	global_load_dwordx2 v[8:9], v[4:5], off
	v_mad_u64_u32 v[16:17], null, 0x2400, s16, v[20:21]
	v_add_co_u32 v0, vcc_lo, 0x2000, v22
	v_add_co_ci_u32_e32 v1, vcc_lo, 0, v23, vcc_lo
	v_add_co_u32 v4, vcc_lo, 0x3000, v22
	v_mov_b32_e32 v2, v17
	v_add_co_ci_u32_e32 v5, vcc_lo, 0, v23, vcc_lo
	s_mul_hi_u32 s9, s16, 0xffffaa80
	v_add_co_u32 v12, vcc_lo, 0x5800, v22
	v_mad_u64_u32 v[2:3], null, 0x2400, s17, v[2:3]
	s_mul_i32 s8, s16, 0xffffaa80
	s_sub_i32 s9, s9, s16
	v_add_co_ci_u32_e32 v13, vcc_lo, 0, v23, vcc_lo
	s_clause 0x1
	global_load_dwordx2 v[53:54], v[0:1], off offset:1024
	global_load_dwordx2 v[51:52], v[4:5], off offset:1536
	global_load_dwordx2 v[0:1], v[18:19], off
	v_mov_b32_e32 v17, v2
	global_load_dwordx2 v[2:3], v[20:21], off
	s_add_i32 s9, s9, s12
	v_add_co_u32 v18, vcc_lo, v16, s8
	v_add_co_ci_u32_e32 v19, vcc_lo, s9, v17, vcc_lo
	s_clause 0x1
	global_load_dwordx2 v[222:223], v[12:13], off offset:512
	global_load_dwordx2 v[211:212], v[14:15], off offset:1664
	v_add_co_u32 v20, vcc_lo, v18, s1
	v_add_co_ci_u32_e32 v21, vcc_lo, s0, v19, vcc_lo
	global_load_dwordx2 v[16:17], v[16:17], off
	v_add_co_u32 v24, vcc_lo, v20, s1
	v_add_co_ci_u32_e32 v25, vcc_lo, s0, v21, vcc_lo
	global_load_dwordx2 v[18:19], v[18:19], off
	;; [unrolled: 3-line block ×3, first 2 shown]
	v_add_co_u32 v28, vcc_lo, v26, s1
	v_add_co_ci_u32_e32 v29, vcc_lo, s0, v27, vcc_lo
	v_add_co_u32 v30, vcc_lo, 0x1800, v22
	v_add_co_ci_u32_e32 v31, vcc_lo, 0, v23, vcc_lo
	v_add_co_u32 v32, vcc_lo, v28, s1
	v_add_co_ci_u32_e32 v33, vcc_lo, s0, v29, vcc_lo
	v_add_co_u32 v14, vcc_lo, v32, s8
	v_add_co_ci_u32_e32 v15, vcc_lo, s9, v33, vcc_lo
	v_add_co_u32 v34, vcc_lo, v14, s1
	v_add_co_ci_u32_e32 v35, vcc_lo, s0, v15, vcc_lo
	global_load_dwordx2 v[61:62], v[30:31], off offset:768
	global_load_dwordx2 v[36:37], v[34:35], off
	global_load_dwordx2 v[213:214], v[12:13], off offset:1664
	s_waitcnt vmcnt(18)
	buffer_store_dword v55, off, s[20:23], 0 offset:60 ; 4-byte Folded Spill
	buffer_store_dword v56, off, s[20:23], 0 offset:64 ; 4-byte Folded Spill
	v_add_co_u32 v38, vcc_lo, 0x2800, v22
	v_add_co_ci_u32_e32 v39, vcc_lo, 0, v23, vcc_lo
	v_add_co_u32 v40, vcc_lo, 0x3800, v22
	v_add_co_ci_u32_e32 v41, vcc_lo, 0, v23, vcc_lo
	;; [unrolled: 2-line block ×5, first 2 shown]
	s_waitcnt vmcnt(15)
	buffer_store_dword v49, off, s[20:23], 0 offset:12 ; 4-byte Folded Spill
	buffer_store_dword v50, off, s[20:23], 0 offset:16 ; 4-byte Folded Spill
	s_waitcnt vmcnt(13)
	buffer_store_dword v57, off, s[20:23], 0 offset:36 ; 4-byte Folded Spill
	buffer_store_dword v58, off, s[20:23], 0 offset:40 ; 4-byte Folded Spill
	v_mul_f32_e32 v45, v6, v56
	v_mul_f32_e32 v34, v7, v56
	v_fma_f32 v35, v7, v55, -v45
	v_fmac_f32_e32 v34, v6, v55
	v_mul_f32_e32 v44, v11, v50
	v_mul_f32_e32 v48, v10, v50
	s_waitcnt vmcnt(12)
	v_mul_f32_e32 v7, v8, v58
	v_mul_f32_e32 v6, v9, v58
	v_fmac_f32_e32 v44, v10, v49
	v_fma_f32 v45, v11, v49, -v48
	s_clause 0x1
	global_load_dwordx2 v[207:208], v[38:39], off offset:128
	global_load_dwordx2 v[233:234], v[38:39], off offset:1280
	global_load_dwordx2 v[10:11], v[24:25], off
	v_fma_f32 v7, v9, v57, -v7
	v_fmac_f32_e32 v6, v8, v57
	s_clause 0x1
	global_load_dwordx2 v[209:210], v[40:41], off offset:640
	global_load_dwordx2 v[48:49], v[4:5], off offset:384
	global_load_dwordx2 v[4:5], v[26:27], off
	ds_write_b64 v203, v[44:45] offset:18432
	s_waitcnt vmcnt(17)
	buffer_store_dword v53, off, s[20:23], 0 offset:28 ; 4-byte Folded Spill
	buffer_store_dword v54, off, s[20:23], 0 offset:32 ; 4-byte Folded Spill
	s_waitcnt vmcnt(11)
	v_mul_f32_e32 v26, v16, v223
	ds_write_b64 v203, v[6:7] offset:4608
	v_add_co_u32 v6, vcc_lo, v12, s1
	v_add_co_ci_u32_e32 v7, vcc_lo, s0, v13, vcc_lo
	global_load_dwordx2 v[12:13], v[12:13], off
	buffer_store_dword v51, off, s[20:23], 0 offset:20 ; 4-byte Folded Spill
	buffer_store_dword v52, off, s[20:23], 0 offset:24 ; 4-byte Folded Spill
	s_clause 0x1
	global_load_dwordx2 v[226:227], v[40:41], off offset:1792
	global_load_dwordx2 v[38:39], v[42:43], off offset:1152
	global_load_dwordx2 v[24:25], v[28:29], off
	v_mul_f32_e32 v8, v1, v54
	v_mul_f32_e32 v9, v0, v54
	v_fmac_f32_e32 v8, v0, v53
	v_fma_f32 v9, v1, v53, -v9
	v_mul_f32_e32 v1, v2, v52
	v_mul_f32_e32 v0, v3, v52
	v_fma_f32 v1, v3, v51, -v1
	v_fmac_f32_e32 v0, v2, v51
	v_add_co_u32 v2, vcc_lo, v6, s1
	v_add_co_ci_u32_e32 v3, vcc_lo, s0, v7, vcc_lo
	global_load_dwordx2 v[6:7], v[6:7], off
	ds_write_b64 v203, v[8:9] offset:9216
	ds_write_b64 v203, v[0:1] offset:13824
	buffer_store_dword v59, off, s[20:23], 0 offset:68 ; 4-byte Folded Spill
	buffer_store_dword v60, off, s[20:23], 0 offset:72 ; 4-byte Folded Spill
	v_mul_f32_e32 v0, v17, v223
	v_fma_f32 v1, v17, v222, -v26
	global_load_dwordx2 v[231:232], v[46:47], off offset:256
	s_waitcnt vmcnt(15)
	v_mul_f32_e32 v26, v20, v212
	v_fmac_f32_e32 v0, v16, v222
	v_add_co_u32 v16, vcc_lo, v2, s1
	v_add_co_ci_u32_e32 v17, vcc_lo, s0, v3, vcc_lo
	ds_write_b64 v203, v[0:1] offset:23040
	global_load_dwordx2 v[2:3], v[2:3], off
	v_add_co_u32 v0, vcc_lo, 0x6000, v22
	v_add_co_ci_u32_e32 v1, vcc_lo, 0, v23, vcc_lo
	v_mul_f32_e32 v9, v18, v60
	v_mul_f32_e32 v8, v19, v60
	v_fma_f32 v9, v19, v59, -v9
	v_fmac_f32_e32 v8, v18, v59
	global_load_dwordx2 v[28:29], v[30:31], off offset:1920
	global_load_dwordx2 v[18:19], v[32:33], off
	v_add_nc_u32_e32 v30, 0x1400, v203
	ds_write2_b64 v203, v[34:35], v[8:9] offset1:144
	s_waitcnt vmcnt(17)
	buffer_store_dword v61, off, s[20:23], 0 offset:108 ; 4-byte Folded Spill
	buffer_store_dword v62, off, s[20:23], 0 offset:112 ; 4-byte Folded Spill
	v_mul_f32_e32 v8, v21, v212
	v_fma_f32 v9, v21, v211, -v26
	global_load_dwordx2 v[228:229], v[0:1], off offset:768
	v_fmac_f32_e32 v8, v20, v211
	s_waitcnt vmcnt(17)
	v_mul_f32_e32 v26, v37, v62
	v_mul_f32_e32 v21, v36, v62
	v_fmac_f32_e32 v26, v36, v61
	v_fma_f32 v27, v37, v61, -v21
	global_load_dwordx2 v[20:21], v[16:17], off
	v_add_co_u32 v16, vcc_lo, v16, s8
	v_add_co_ci_u32_e32 v17, vcc_lo, s9, v17, vcc_lo
	ds_write2_b64 v30, v[8:9], v[26:27] offset0:80 offset1:224
	s_waitcnt vmcnt(14)
	v_mul_f32_e32 v8, v11, v208
	v_mul_f32_e32 v9, v10, v208
	s_waitcnt vmcnt(11)
	v_mul_f32_e32 v26, v4, v210
	v_add_nc_u32_e32 v27, 0x3800, v203
	v_fmac_f32_e32 v8, v10, v207
	v_mul_f32_e32 v10, v5, v210
	v_fma_f32 v9, v11, v207, -v9
	v_fma_f32 v11, v5, v209, -v26
	s_waitcnt vmcnt(10)
	v_mul_f32_e32 v5, v12, v234
	v_add_nc_u32_e32 v26, 0x2800, v203
	v_fmac_f32_e32 v10, v4, v209
	v_mul_f32_e32 v4, v13, v234
	v_fma_f32 v5, v13, v233, -v5
	v_fmac_f32_e32 v4, v12, v233
	v_add_co_u32 v12, vcc_lo, 0x800, v22
	v_add_co_ci_u32_e32 v13, vcc_lo, 0, v23, vcc_lo
	ds_write2_b64 v26, v[8:9], v[4:5] offset0:16 offset1:160
	s_waitcnt vmcnt(6)
	v_mul_f32_e32 v5, v6, v227
	v_mul_f32_e32 v4, v7, v227
	v_add_co_u32 v8, vcc_lo, 0x4000, v22
	v_mul_f32_e32 v22, v24, v39
	v_fma_f32 v5, v7, v226, -v5
	v_fmac_f32_e32 v4, v6, v226
	v_mul_f32_e32 v6, v25, v39
	v_add_co_ci_u32_e32 v9, vcc_lo, 0, v23, vcc_lo
	v_fma_f32 v7, v25, v38, -v22
	buffer_store_dword v38, off, s[20:23], 0 offset:44 ; 4-byte Folded Spill
	buffer_store_dword v39, off, s[20:23], 0 offset:48 ; 4-byte Folded Spill
	global_load_dwordx2 v[253:254], v[46:47], off offset:1408
	global_load_dwordx2 v[14:15], v[14:15], off
	ds_write2_b64 v27, v[10:11], v[4:5] offset0:80 offset1:224
	s_clause 0x2
	global_load_dwordx2 v[220:221], v[12:13], off offset:256
	global_load_dwordx2 v[224:225], v[12:13], off offset:1408
	;; [unrolled: 1-line block ×3, first 2 shown]
	global_load_dwordx2 v[0:1], v[16:17], off
	s_waitcnt vmcnt(10)
	v_mul_f32_e32 v22, v2, v232
	v_mul_f32_e32 v4, v3, v232
	v_add_nc_u32_e32 v23, 0x4c00, v203
	s_waitcnt vmcnt(8)
	v_mul_f32_e32 v10, v18, v214
	v_add_nc_u32_e32 v25, 0x5c00, v203
	v_fma_f32 v5, v3, v231, -v22
	v_fmac_f32_e32 v4, v2, v231
	v_add_co_u32 v2, vcc_lo, v16, s1
	v_add_co_ci_u32_e32 v3, vcc_lo, s0, v17, vcc_lo
	s_waitcnt vmcnt(6)
	v_mul_f32_e32 v11, v20, v229
	v_fma_f32 v11, v21, v228, -v11
	v_fmac_f32_e32 v6, v24, v38
	ds_write2_b64 v23, v[6:7], v[4:5] offset0:16 offset1:160
	v_add_co_u32 v6, vcc_lo, v2, s1
	v_add_co_ci_u32_e32 v7, vcc_lo, s0, v3, vcc_lo
	global_load_dwordx2 v[2:3], v[2:3], off
	v_add_co_u32 v12, vcc_lo, v6, s1
	v_add_co_ci_u32_e32 v13, vcc_lo, s0, v7, vcc_lo
	global_load_dwordx2 v[6:7], v[6:7], off
	v_add_co_u32 v16, vcc_lo, v12, s1
	global_load_dwordx2 v[235:236], v[8:9], off offset:896
	global_load_dwordx2 v[8:9], v[12:13], off
	s_waitcnt vmcnt(7)
	v_mul_f32_e32 v12, v14, v221
	v_add_co_ci_u32_e32 v17, vcc_lo, s0, v13, vcc_lo
	v_mul_f32_e32 v4, v19, v214
	v_fma_f32 v5, v19, v213, -v10
	v_fma_f32 v13, v15, v220, -v12
	v_mul_f32_e32 v12, v15, v221
	v_mul_f32_e32 v10, v21, v229
	v_fmac_f32_e32 v4, v18, v213
	v_add_nc_u32_e32 v21, 0x5000, v203
	v_fmac_f32_e32 v12, v14, v220
	s_waitcnt vmcnt(4)
	v_mul_f32_e32 v14, v0, v225
	v_fmac_f32_e32 v10, v20, v228
	v_mov_b32_e32 v77, v21
	v_fma_f32 v15, v1, v224, -v14
	v_mul_f32_e32 v14, v1, v225
	ds_write2_b64 v25, v[4:5], v[10:11] offset0:80 offset1:224
	v_add_co_u32 v10, vcc_lo, v16, s1
	v_add_co_ci_u32_e32 v11, vcc_lo, s0, v17, vcc_lo
	v_fmac_f32_e32 v14, v0, v224
	global_load_dwordx2 v[4:5], v[16:17], off
	v_cmp_gt_u16_e32 vcc_lo, 0x48, v86
	global_load_dwordx2 v[10:11], v[10:11], off
	buffer_store_dword v28, off, s[20:23], 0 offset:76 ; 4-byte Folded Spill
	buffer_store_dword v29, off, s[20:23], 0 offset:80 ; 4-byte Folded Spill
	ds_write2_b64 v255, v[12:13], v[14:15] offset0:32 offset1:176
	buffer_store_dword v48, off, s[20:23], 0 offset:52 ; 4-byte Folded Spill
	buffer_store_dword v49, off, s[20:23], 0 offset:56 ; 4-byte Folded Spill
	s_load_dwordx4 s[0:3], s[2:3], 0x0
	s_waitcnt vmcnt(5)
	v_mul_f32_e32 v0, v3, v29
	v_mul_f32_e32 v1, v2, v29
	s_waitcnt vmcnt(4)
	v_mul_f32_e32 v13, v6, v49
	v_mul_f32_e32 v12, v7, v49
	v_fmac_f32_e32 v0, v2, v28
	s_waitcnt vmcnt(2)
	v_mul_f32_e32 v2, v9, v236
	v_fma_f32 v13, v7, v48, -v13
	s_waitcnt vmcnt(1)
	v_mul_f32_e32 v7, v4, v254
	v_fma_f32 v1, v3, v28, -v1
	v_mul_f32_e32 v3, v8, v236
	v_fmac_f32_e32 v12, v6, v48
	v_mul_f32_e32 v6, v5, v254
	v_fmac_f32_e32 v2, v8, v235
	v_fma_f32 v7, v5, v253, -v7
	s_waitcnt vmcnt(0)
	v_mul_f32_e32 v5, v10, v238
	v_mul_f32_e32 v8, v11, v238
	v_fma_f32 v3, v9, v235, -v3
	v_fmac_f32_e32 v6, v4, v253
	v_fma_f32 v9, v11, v237, -v5
	v_fmac_f32_e32 v8, v10, v237
	ds_write_b64 v203, v[0:1] offset:8064
	ds_write_b64 v203, v[12:13] offset:12672
	;; [unrolled: 1-line block ×5, first 2 shown]
	s_waitcnt lgkmcnt(0)
	s_waitcnt_vscnt null, 0x0
	s_barrier
	buffer_gl0_inv
	ds_read2_b64 v[0:3], v203 offset1:144
	ds_read2_b64 v[4:7], v215 offset1:144
	;; [unrolled: 1-line block ×3, first 2 shown]
	s_waitcnt lgkmcnt(1)
	v_add_f32_e32 v12, v0, v4
	s_waitcnt lgkmcnt(0)
	v_add_f32_e32 v24, v4, v8
	v_sub_f32_e32 v25, v5, v9
	v_add_f32_e32 v13, v1, v5
	v_add_f32_e32 v26, v5, v9
	v_sub_f32_e32 v27, v4, v8
	v_add_f32_e32 v4, v2, v6
	v_add_f32_e32 v5, v3, v7
	;; [unrolled: 1-line block ×3, first 2 shown]
	v_add_nc_u32_e32 v12, 0x3400, v203
	v_add_f32_e32 v28, v6, v10
	v_sub_f32_e32 v29, v7, v11
	v_add_f32_e32 v30, v7, v11
	v_sub_f32_e32 v31, v6, v10
	v_add_f32_e32 v33, v13, v9
	v_add_f32_e32 v34, v4, v10
	;; [unrolled: 1-line block ×3, first 2 shown]
	ds_read2_b64 v[4:7], v243 offset0:64 offset1:208
	ds_read2_b64 v[8:11], v12 offset0:64 offset1:208
	v_mov_b32_e32 v230, v12
	ds_read2_b64 v[12:15], v216 offset0:64 offset1:208
	v_fma_f32 v0, -0.5, v24, v0
	v_fma_f32 v1, -0.5, v26, v1
	v_fmac_f32_e32 v3, -0.5, v30
	v_fmamk_f32 v24, v25, 0x3f5db3d7, v0
	v_fmac_f32_e32 v0, 0xbf5db3d7, v25
	v_fmamk_f32 v26, v27, 0xbf5db3d7, v1
	v_fmac_f32_e32 v1, 0x3f5db3d7, v27
	s_waitcnt lgkmcnt(1)
	v_add_f32_e32 v16, v4, v8
	v_add_f32_e32 v17, v5, v9
	s_waitcnt lgkmcnt(0)
	v_add_f32_e32 v36, v8, v12
	v_sub_f32_e32 v37, v9, v13
	v_add_f32_e32 v38, v9, v13
	v_sub_f32_e32 v39, v8, v12
	v_add_f32_e32 v8, v6, v10
	v_add_f32_e32 v9, v7, v11
	v_add_f32_e32 v40, v10, v14
	v_sub_f32_e32 v41, v11, v15
	v_add_f32_e32 v42, v11, v15
	v_sub_f32_e32 v43, v10, v14
	v_add_f32_e32 v44, v16, v12
	v_add_f32_e32 v45, v17, v13
	;; [unrolled: 1-line block ×4, first 2 shown]
	ds_read2_b64 v[8:11], v255 offset0:32 offset1:176
	ds_read2_b64 v[12:15], v242 offset0:32 offset1:176
	;; [unrolled: 1-line block ×3, first 2 shown]
	v_fma_f32 v5, -0.5, v38, v5
	v_fma_f32 v4, -0.5, v36, v4
	v_fmac_f32_e32 v7, -0.5, v42
	s_waitcnt lgkmcnt(1)
	v_add_f32_e32 v20, v8, v12
	s_waitcnt lgkmcnt(0)
	v_add_f32_e32 v48, v12, v16
	v_sub_f32_e32 v49, v13, v17
	v_add_f32_e32 v21, v9, v13
	v_add_f32_e32 v50, v13, v17
	v_sub_f32_e32 v51, v12, v16
	v_add_f32_e32 v12, v10, v14
	v_add_f32_e32 v13, v11, v15
	;; [unrolled: 1-line block ×3, first 2 shown]
	v_sub_f32_e32 v53, v15, v19
	v_add_f32_e32 v54, v15, v19
	v_sub_f32_e32 v55, v14, v18
	v_add_f32_e32 v56, v20, v16
	v_add_f32_e32 v57, v21, v17
	;; [unrolled: 1-line block ×4, first 2 shown]
	ds_read2_b64 v[12:15], v239 offset0:96 offset1:240
	ds_read2_b64 v[16:19], v218 offset0:96 offset1:240
	;; [unrolled: 1-line block ×3, first 2 shown]
	s_waitcnt lgkmcnt(0)
	s_barrier
	buffer_gl0_inv
	v_fma_f32 v8, -0.5, v48, v8
	v_add_co_u32 v48, null, 0x120, v85
	v_fma_f32 v9, -0.5, v50, v9
	v_fmac_f32_e32 v11, -0.5, v54
	v_add_f32_e32 v60, v12, v16
	v_add_f32_e32 v61, v16, v20
	v_sub_f32_e32 v62, v17, v21
	v_add_f32_e32 v63, v13, v17
	v_add_f32_e32 v64, v17, v21
	v_sub_f32_e32 v65, v16, v20
	v_add_f32_e32 v16, v14, v18
	v_add_f32_e32 v17, v15, v19
	;; [unrolled: 1-line block ×3, first 2 shown]
	v_sub_f32_e32 v67, v19, v23
	v_add_f32_e32 v68, v19, v23
	v_sub_f32_e32 v69, v18, v22
	v_add_f32_e32 v22, v16, v22
	v_add_f32_e32 v23, v17, v23
	v_fmamk_f32 v16, v39, 0xbf5db3d7, v5
	v_fmamk_f32 v17, v37, 0x3f5db3d7, v4
	v_fmac_f32_e32 v4, 0xbf5db3d7, v37
	v_fmac_f32_e32 v5, 0x3f5db3d7, v39
	v_add_f32_e32 v20, v60, v20
	v_mul_f32_e32 v36, 0x3f5db3d7, v16
	v_mul_f32_e32 v38, 0xbf5db3d7, v17
	v_mul_f32_e32 v25, -0.5, v4
	v_add_f32_e32 v21, v63, v21
	v_fmac_f32_e32 v15, -0.5, v68
	v_fmac_f32_e32 v36, 0.5, v17
	v_fmac_f32_e32 v38, 0.5, v16
	v_mul_lo_u16 v16, v86, 6
	v_fmac_f32_e32 v25, 0x3f5db3d7, v5
	v_mul_f32_e32 v5, -0.5, v5
	v_add_f32_e32 v17, v33, v45
	v_add_f32_e32 v18, v24, v36
	v_lshlrev_b32_sdwa v60, v87, v16 dst_sel:DWORD dst_unused:UNUSED_PAD src0_sel:DWORD src1_sel:WORD_0
	v_add_f32_e32 v16, v32, v44
	v_add_f32_e32 v19, v26, v38
	v_fmac_f32_e32 v5, 0xbf5db3d7, v4
	buffer_store_dword v60, off, s[20:23], 0 offset:104 ; 4-byte Folded Spill
	ds_write_b128 v60, v[16:19]
	v_sub_f32_e32 v18, v32, v44
	v_sub_f32_e32 v19, v33, v45
	v_add_f32_e32 v16, v0, v25
	v_add_f32_e32 v17, v1, v5
	v_and_b32_e32 v32, 0xff, v86
	ds_write_b128 v60, v[16:19] offset:16
	v_sub_f32_e32 v18, v0, v25
	v_fma_f32 v0, -0.5, v40, v6
	v_sub_f32_e32 v19, v1, v5
	v_fmamk_f32 v1, v43, 0xbf5db3d7, v7
	v_sub_f32_e32 v16, v24, v36
	v_sub_f32_e32 v17, v26, v38
	v_fmamk_f32 v4, v41, 0x3f5db3d7, v0
	v_fmamk_f32 v26, v31, 0xbf5db3d7, v3
	v_mul_f32_e32 v24, 0x3f5db3d7, v1
	v_fmac_f32_e32 v0, 0xbf5db3d7, v41
	ds_write_b128 v60, v[16:19] offset:32
	v_mul_f32_e32 v25, 0xbf5db3d7, v4
	v_add_f32_e32 v16, v34, v46
	v_fmac_f32_e32 v24, 0.5, v4
	v_add_f32_e32 v17, v35, v47
	v_fmac_f32_e32 v7, 0x3f5db3d7, v43
	v_fmac_f32_e32 v25, 0.5, v1
	v_fma_f32 v1, -0.5, v28, v2
	v_mul_u32_u24_e32 v2, 6, v92
	v_fmac_f32_e32 v3, 0x3f5db3d7, v31
	v_sub_f32_e32 v6, v34, v46
	v_add_f32_e32 v19, v26, v25
	v_lshlrev_b32_e32 v27, 3, v2
	v_fmamk_f32 v2, v29, 0x3f5db3d7, v1
	v_fmac_f32_e32 v1, 0xbf5db3d7, v29
	buffer_store_dword v27, off, s[20:23], 0 offset:100 ; 4-byte Folded Spill
	v_add_f32_e32 v18, v2, v24
	ds_write_b128 v27, v[16:19]
	v_mul_f32_e32 v16, -0.5, v0
	v_mul_f32_e32 v17, -0.5, v7
	v_fmac_f32_e32 v16, 0x3f5db3d7, v7
	v_fmac_f32_e32 v17, 0xbf5db3d7, v0
	v_sub_f32_e32 v7, v35, v47
	v_sub_f32_e32 v0, v2, v24
	v_add_f32_e32 v4, v1, v16
	v_add_f32_e32 v5, v3, v17
	v_sub_f32_e32 v3, v3, v17
	v_sub_f32_e32 v2, v1, v16
	;; [unrolled: 1-line block ×3, first 2 shown]
	ds_write_b128 v27, v[4:7] offset:16
	v_fma_f32 v4, -0.5, v64, v13
	v_fma_f32 v5, -0.5, v61, v12
	ds_write_b128 v27, v[0:3] offset:32
	v_fmamk_f32 v12, v49, 0x3f5db3d7, v8
	v_fmamk_f32 v13, v51, 0xbf5db3d7, v9
	;; [unrolled: 1-line block ×4, first 2 shown]
	v_fmac_f32_e32 v5, 0xbf5db3d7, v62
	v_fmac_f32_e32 v4, 0x3f5db3d7, v65
	;; [unrolled: 1-line block ×3, first 2 shown]
	v_mul_f32_e32 v6, 0x3f5db3d7, v0
	v_mul_f32_e32 v7, 0xbf5db3d7, v1
	v_mul_f32_e32 v16, -0.5, v5
	v_fmac_f32_e32 v9, 0x3f5db3d7, v51
	v_fmac_f32_e32 v6, 0.5, v1
	v_fmac_f32_e32 v7, 0.5, v0
	v_mul_u32_u24_e32 v0, 6, v48
	v_fmac_f32_e32 v16, 0x3f5db3d7, v4
	v_mul_f32_e32 v4, -0.5, v4
	v_add_f32_e32 v1, v57, v21
	v_add_f32_e32 v2, v12, v6
	v_lshlrev_b32_e32 v17, 3, v0
	v_add_f32_e32 v0, v56, v20
	v_add_f32_e32 v3, v13, v7
	v_fmac_f32_e32 v4, 0xbf5db3d7, v5
	buffer_store_dword v17, off, s[20:23], 0 offset:96 ; 4-byte Folded Spill
	ds_write_b128 v17, v[0:3]
	v_sub_f32_e32 v2, v56, v20
	v_sub_f32_e32 v3, v57, v21
	v_add_f32_e32 v0, v8, v16
	v_add_f32_e32 v1, v9, v4
	ds_write_b128 v17, v[0:3] offset:16
	v_sub_f32_e32 v0, v12, v6
	v_sub_f32_e32 v2, v8, v16
	v_sub_f32_e32 v1, v13, v7
	v_sub_f32_e32 v3, v9, v4
	v_fma_f32 v4, -0.5, v66, v14
	v_fma_f32 v7, -0.5, v52, v10
	v_fmamk_f32 v9, v55, 0xbf5db3d7, v11
	v_fmac_f32_e32 v11, 0x3f5db3d7, v55
	ds_write_b128 v17, v[0:3] offset:32
	v_fmamk_f32 v0, v69, 0xbf5db3d7, v15
	v_fmamk_f32 v1, v67, 0x3f5db3d7, v4
	v_fmac_f32_e32 v4, 0xbf5db3d7, v67
	v_fmac_f32_e32 v15, 0x3f5db3d7, v69
	v_fmamk_f32 v8, v53, 0x3f5db3d7, v7
	v_mul_f32_e32 v5, 0x3f5db3d7, v0
	v_mul_f32_e32 v6, 0xbf5db3d7, v1
	v_mul_f32_e32 v10, -0.5, v4
	v_mul_f32_e32 v12, -0.5, v15
	v_fmac_f32_e32 v7, 0xbf5db3d7, v53
	v_fmac_f32_e32 v5, 0.5, v1
	v_fmac_f32_e32 v6, 0.5, v0
	v_mul_u32_u24_e32 v0, 6, v72
	v_add_f32_e32 v1, v59, v23
	v_fmac_f32_e32 v10, 0x3f5db3d7, v15
	v_add_f32_e32 v2, v8, v5
	v_add_f32_e32 v3, v9, v6
	v_lshlrev_b32_e32 v13, 3, v0
	v_add_f32_e32 v0, v58, v22
	v_fmac_f32_e32 v12, 0xbf5db3d7, v4
	buffer_store_dword v13, off, s[20:23], 0 offset:92 ; 4-byte Folded Spill
	ds_write_b128 v13, v[0:3]
	v_sub_f32_e32 v2, v58, v22
	v_sub_f32_e32 v3, v59, v23
	v_add_f32_e32 v0, v7, v10
	v_add_f32_e32 v1, v11, v12
	ds_write_b128 v13, v[0:3] offset:16
	v_sub_f32_e32 v3, v11, v12
	v_sub_f32_e32 v0, v8, v5
	;; [unrolled: 1-line block ×4, first 2 shown]
	v_mov_b32_e32 v8, 0xaaab
	ds_write_b128 v13, v[0:3] offset:32
	v_mul_lo_u16 v0, 0xab, v32
	s_waitcnt lgkmcnt(0)
	s_waitcnt_vscnt null, 0x0
	s_barrier
	buffer_gl0_inv
	v_lshrrev_b16 v36, 10, v0
	v_mul_u32_u24_sdwa v0, v92, v8 dst_sel:DWORD dst_unused:UNUSED_PAD src0_sel:WORD_0 src1_sel:DWORD
	v_lshrrev_b32_e32 v33, 18, v0
	v_mul_lo_u16 v0, v36, 6
	v_mul_lo_u16 v1, v33, 6
	v_sub_nc_u16 v0, v86, v0
	v_sub_nc_u16 v34, v92, v1
	v_and_b32_e32 v35, 0xff, v0
	v_mul_lo_u16 v0, v34, 40
	v_mad_u64_u32 v[2:3], null, v35, 40, s[10:11]
	s_clause 0x2
	global_load_dwordx2 v[201:202], v[2:3], off offset:32
	global_load_dwordx4 v[140:143], v[2:3], off
	global_load_dwordx4 v[157:160], v[2:3], off offset:16
	v_and_b32_e32 v0, 0xffff, v0
	ds_read2_b64 v[4:7], v243 offset0:64 offset1:208
	ds_read2_b64 v[16:19], v230 offset0:64 offset1:208
	v_add_co_u32 v0, s8, s10, v0
	v_add_co_ci_u32_e64 v1, null, s11, 0, s8
	global_load_dwordx4 v[153:156], v[0:1], off
	s_waitcnt vmcnt(2) lgkmcnt(1)
	v_mul_f32_e32 v2, v5, v141
	v_mul_f32_e32 v51, v4, v141
	v_fma_f32 v50, v4, v140, -v2
	v_fmac_f32_e32 v51, v5, v140
	s_waitcnt vmcnt(0)
	v_mul_f32_e32 v2, v7, v154
	v_mul_f32_e32 v40, v6, v154
	v_fma_f32 v39, v6, v153, -v2
	v_fmac_f32_e32 v40, v7, v153
	ds_read2_b64 v[4:7], v215 offset1:144
	s_clause 0x1
	global_load_dwordx2 v[205:206], v[0:1], off offset:32
	global_load_dwordx4 v[144:147], v[0:1], off offset:16
	v_mul_u32_u24_sdwa v1, v72, v8 dst_sel:DWORD dst_unused:UNUSED_PAD src0_sel:WORD_0 src1_sel:DWORD
	v_lshrrev_b32_e32 v37, 18, v1
	s_waitcnt lgkmcnt(0)
	v_mul_f32_e32 v2, v5, v143
	v_mul_f32_e32 v45, v6, v156
	v_fma_f32 v9, v4, v142, -v2
	v_mul_f32_e32 v2, v7, v156
	v_mul_f32_e32 v4, v4, v143
	v_fmac_f32_e32 v45, v7, v155
	v_fma_f32 v49, v6, v155, -v2
	v_mul_f32_e32 v2, v17, v158
	v_mul_f32_e32 v6, v16, v158
	v_fmac_f32_e32 v4, v5, v142
	v_fma_f32 v5, v16, v157, -v2
	v_fmac_f32_e32 v6, v17, v157
	s_waitcnt vmcnt(0)
	v_mul_f32_e32 v0, v19, v145
	v_mul_f32_e32 v46, v18, v145
	v_fma_f32 v47, v18, v144, -v0
	v_fmac_f32_e32 v46, v19, v144
	ds_read2_b64 v[16:19], v204 offset1:144
	s_waitcnt lgkmcnt(0)
	v_mul_f32_e32 v0, v17, v160
	v_mul_f32_e32 v10, v16, v160
	;; [unrolled: 1-line block ×3, first 2 shown]
	v_fma_f32 v7, v16, v159, -v0
	v_mul_f32_e32 v0, v19, v147
	v_fmac_f32_e32 v10, v17, v159
	v_fmac_f32_e32 v58, v19, v146
	v_fma_f32 v60, v18, v146, -v0
	ds_read2_b64 v[16:19], v216 offset0:64 offset1:208
	s_waitcnt lgkmcnt(0)
	v_mul_f32_e32 v0, v17, v202
	v_mul_f32_e32 v12, v16, v202
	;; [unrolled: 1-line block ×3, first 2 shown]
	v_fma_f32 v11, v16, v201, -v0
	v_mul_f32_e32 v0, v19, v206
	v_fmac_f32_e32 v12, v17, v201
	v_fmac_f32_e32 v59, v19, v205
	v_fma_f32 v61, v18, v205, -v0
	v_mul_u32_u24_sdwa v0, v48, v8 dst_sel:DWORD dst_unused:UNUSED_PAD src0_sel:WORD_0 src1_sel:DWORD
	v_lshrrev_b32_e32 v43, 18, v0
	v_mul_lo_u16 v0, v43, 6
	v_sub_nc_u16 v44, v48, v0
	v_mul_lo_u16 v0, v37, 6
	v_sub_nc_u16 v38, v72, v0
	v_mul_lo_u16 v0, v44, 40
	v_mul_lo_u16 v1, v38, 40
	v_and_b32_e32 v0, 0xffff, v0
	v_and_b32_e32 v2, 0xffff, v1
	v_add_co_u32 v0, s8, s10, v0
	v_add_co_ci_u32_e64 v1, null, s11, 0, s8
	v_add_co_u32 v2, s8, s10, v2
	v_add_co_ci_u32_e64 v3, null, s11, 0, s8
	s_clause 0x2
	global_load_dwordx2 v[165:166], v[0:1], off offset:32
	global_load_dwordx4 v[116:119], v[0:1], off
	global_load_dwordx4 v[136:139], v[0:1], off offset:16
	ds_read2_b64 v[20:23], v239 offset0:96 offset1:240
	ds_read2_b64 v[62:65], v218 offset0:96 offset1:240
	global_load_dwordx4 v[124:127], v[2:3], off
	v_add_f32_e32 v1, v9, v7
	s_waitcnt vmcnt(2) lgkmcnt(1)
	v_mul_f32_e32 v0, v21, v117
	v_mul_f32_e32 v57, v20, v117
	s_waitcnt vmcnt(1) lgkmcnt(0)
	v_mul_f32_e32 v15, v62, v137
	s_waitcnt vmcnt(0)
	v_mul_f32_e32 v42, v22, v125
	v_fma_f32 v56, v20, v116, -v0
	v_mul_f32_e32 v0, v23, v125
	v_fmac_f32_e32 v57, v21, v116
	v_fmac_f32_e32 v15, v63, v136
	;; [unrolled: 1-line block ×3, first 2 shown]
	v_fma_f32 v41, v22, v124, -v0
	ds_read2_b64 v[20:23], v242 offset0:32 offset1:176
	s_clause 0x1
	global_load_dwordx2 v[167:168], v[2:3], off offset:32
	global_load_dwordx4 v[120:123], v[2:3], off offset:16
	v_add_f32_e32 v2, v4, v10
	v_add_f32_e32 v3, v51, v6
	ds_read2_b64 v[73:76], v255 offset0:32 offset1:176
	s_waitcnt lgkmcnt(1)
	v_mul_f32_e32 v0, v21, v119
	v_mul_f32_e32 v13, v20, v119
	;; [unrolled: 1-line block ×3, first 2 shown]
	v_fma_f32 v8, v20, v118, -v0
	v_mul_f32_e32 v0, v23, v127
	v_sub_f32_e32 v20, v4, v10
	v_fmac_f32_e32 v13, v21, v118
	v_fmac_f32_e32 v52, v23, v126
	v_fma_f32 v55, v22, v126, -v0
	v_mul_f32_e32 v0, v63, v137
	v_fma_f32 v14, v62, v136, -v0
	s_waitcnt vmcnt(0)
	v_mul_f32_e32 v0, v65, v121
	v_mul_f32_e32 v53, v64, v121
	v_fma_f32 v54, v64, v120, -v0
	v_fmac_f32_e32 v53, v65, v120
	ds_read2_b64 v[64:67], v77 offset0:32 offset1:176
	s_waitcnt lgkmcnt(0)
	v_mul_f32_e32 v0, v65, v139
	v_mul_f32_e32 v17, v64, v139
	v_mul_f32_e32 v63, v66, v123
	v_fma_f32 v16, v64, v138, -v0
	v_mul_f32_e32 v0, v67, v123
	v_fmac_f32_e32 v17, v65, v138
	v_fmac_f32_e32 v63, v67, v122
	v_fma_f32 v65, v66, v122, -v0
	ds_read2_b64 v[66:69], v219 offset0:96 offset1:240
	s_waitcnt lgkmcnt(0)
	v_mul_f32_e32 v0, v67, v166
	v_mul_f32_e32 v19, v66, v166
	;; [unrolled: 1-line block ×3, first 2 shown]
	v_fma_f32 v18, v66, v165, -v0
	v_mul_f32_e32 v0, v69, v168
	v_fmac_f32_e32 v19, v67, v165
	v_fmac_f32_e32 v62, v69, v167
	v_fma_f32 v64, v68, v167, -v0
	ds_read2_b64 v[66:69], v203 offset1:144
	v_mov_b32_e32 v0, 36
	s_waitcnt lgkmcnt(0)
	s_barrier
	buffer_gl0_inv
	v_mul_u32_u24_sdwa v0, v36, v0 dst_sel:DWORD dst_unused:UNUSED_PAD src0_sel:WORD_0 src1_sel:DWORD
	v_add_lshl_u32 v26, v0, v35, 3
	buffer_store_dword v26, off, s[20:23], 0 offset:128 ; 4-byte Folded Spill
	v_add_f32_e32 v0, v66, v9
	v_sub_f32_e32 v9, v9, v7
	v_fma_f32 v22, -0.5, v1, v66
	v_fma_f32 v23, -0.5, v2, v67
	v_add_f32_e32 v7, v0, v7
	v_add_f32_e32 v0, v67, v4
	v_fmamk_f32 v24, v20, 0x3f5db3d7, v22
	v_fmamk_f32 v25, v9, 0xbf5db3d7, v23
	v_fmac_f32_e32 v22, 0xbf5db3d7, v20
	v_fmac_f32_e32 v23, 0x3f5db3d7, v9
	v_add_f32_e32 v4, v0, v10
	v_add_f32_e32 v0, v6, v12
	;; [unrolled: 1-line block ×3, first 2 shown]
	v_sub_f32_e32 v6, v6, v12
	v_add_f32_e32 v9, v47, v61
	v_fmac_f32_e32 v51, -0.5, v0
	v_add_f32_e32 v0, v50, v5
	v_sub_f32_e32 v5, v5, v11
	v_fmac_f32_e32 v50, -0.5, v10
	v_add_f32_e32 v10, v3, v12
	v_add_f32_e32 v11, v0, v11
	v_fmamk_f32 v0, v5, 0xbf5db3d7, v51
	v_fmamk_f32 v3, v6, 0x3f5db3d7, v50
	v_add_f32_e32 v1, v4, v10
	v_fmac_f32_e32 v50, 0xbf5db3d7, v6
	v_fmac_f32_e32 v51, 0x3f5db3d7, v5
	v_mul_f32_e32 v12, 0x3f5db3d7, v0
	v_mul_f32_e32 v21, 0xbf5db3d7, v3
	v_sub_f32_e32 v6, v45, v58
	v_mul_f32_e32 v5, -0.5, v51
	v_fmac_f32_e32 v12, 0.5, v3
	v_fmac_f32_e32 v21, 0.5, v0
	v_add_f32_e32 v0, v7, v11
	v_fmac_f32_e32 v5, 0xbf5db3d7, v50
	v_add_f32_e32 v2, v24, v12
	v_add_f32_e32 v3, v25, v21
	ds_write2_b64 v26, v[0:1], v[2:3] offset1:6
	v_sub_f32_e32 v1, v4, v10
	v_mul_f32_e32 v4, -0.5, v50
	v_sub_f32_e32 v0, v7, v11
	v_add_f32_e32 v3, v23, v5
	v_sub_f32_e32 v10, v47, v61
	v_fmac_f32_e32 v4, 0x3f5db3d7, v51
	v_add_f32_e32 v2, v22, v4
	ds_write2_b64 v26, v[2:3], v[0:1] offset0:12 offset1:18
	v_sub_f32_e32 v0, v24, v12
	v_sub_f32_e32 v1, v25, v21
	;; [unrolled: 1-line block ×5, first 2 shown]
	ds_write2_b64 v26, v[0:1], v[2:3] offset0:24 offset1:30
	v_add_f32_e32 v1, v68, v49
	v_add_f32_e32 v3, v45, v58
	;; [unrolled: 1-line block ×3, first 2 shown]
	v_mad_u16 v0, v33, 36, v34
	v_add_f32_e32 v5, v1, v60
	v_add_f32_e32 v1, v69, v45
	v_fmac_f32_e32 v69, -0.5, v3
	v_add_f32_e32 v3, v40, v46
	v_fma_f32 v22, -0.5, v2, v68
	v_lshlrev_b32_sdwa v25, v87, v0 dst_sel:DWORD dst_unused:UNUSED_PAD src0_sel:DWORD src1_sel:WORD_0
	v_add_f32_e32 v7, v1, v58
	v_add_f32_e32 v1, v46, v59
	;; [unrolled: 1-line block ×3, first 2 shown]
	v_fmamk_f32 v23, v6, 0x3f5db3d7, v22
	v_fmamk_f32 v24, v4, 0xbf5db3d7, v69
	v_fmac_f32_e32 v69, 0x3f5db3d7, v4
	v_fmac_f32_e32 v40, -0.5, v1
	v_add_f32_e32 v1, v39, v47
	v_fmac_f32_e32 v39, -0.5, v9
	v_sub_f32_e32 v9, v46, v59
	v_fmac_f32_e32 v22, 0xbf5db3d7, v6
	v_sub_f32_e32 v6, v13, v17
	v_add_f32_e32 v11, v1, v61
	v_fmamk_f32 v1, v10, 0xbf5db3d7, v40
	v_fmamk_f32 v3, v9, 0x3f5db3d7, v39
	v_fmac_f32_e32 v39, 0xbf5db3d7, v9
	v_fmac_f32_e32 v40, 0x3f5db3d7, v10
	v_add_f32_e32 v0, v5, v11
	v_mul_f32_e32 v20, 0x3f5db3d7, v1
	v_mul_f32_e32 v21, 0xbf5db3d7, v3
	v_mul_f32_e32 v4, -0.5, v39
	v_add_f32_e32 v9, v14, v18
	v_sub_f32_e32 v10, v14, v18
	v_fmac_f32_e32 v20, 0.5, v3
	v_fmac_f32_e32 v21, 0.5, v1
	v_add_f32_e32 v1, v7, v12
	v_fmac_f32_e32 v4, 0x3f5db3d7, v40
	buffer_store_dword v25, off, s[20:23], 0 offset:124 ; 4-byte Folded Spill
	v_add_f32_e32 v2, v23, v20
	v_add_f32_e32 v3, v24, v21
	v_mov_b32_e32 v45, v77
	v_mov_b32_e32 v47, v218
	;; [unrolled: 1-line block ×3, first 2 shown]
	ds_write2_b64 v25, v[0:1], v[2:3] offset1:6
	v_sub_f32_e32 v0, v5, v11
	v_mul_f32_e32 v5, -0.5, v40
	v_sub_f32_e32 v1, v7, v12
	v_add_f32_e32 v2, v22, v4
	v_fmac_f32_e32 v5, 0xbf5db3d7, v39
	v_add_f32_e32 v3, v69, v5
	ds_write2_b64 v25, v[2:3], v[0:1] offset0:12 offset1:18
	v_sub_f32_e32 v1, v69, v5
	v_sub_f32_e32 v0, v22, v4
	;; [unrolled: 1-line block ×5, first 2 shown]
	ds_write2_b64 v25, v[2:3], v[0:1] offset0:24 offset1:30
	v_add_f32_e32 v1, v73, v8
	v_add_f32_e32 v2, v8, v16
	;; [unrolled: 1-line block ×4, first 2 shown]
	v_mad_u16 v0, v43, 36, v44
	v_add_f32_e32 v5, v1, v16
	v_add_f32_e32 v1, v74, v13
	;; [unrolled: 1-line block ×3, first 2 shown]
	v_add_nc_u32_e32 v43, 0x2800, v203
	v_add_f32_e32 v7, v1, v17
	v_add_f32_e32 v1, v15, v19
	v_fmac_f32_e32 v57, -0.5, v1
	v_add_f32_e32 v1, v56, v14
	v_fmac_f32_e32 v56, -0.5, v9
	v_sub_f32_e32 v9, v15, v19
	v_fma_f32 v14, -0.5, v2, v73
	v_fma_f32 v15, -0.5, v3, v74
	v_add_f32_e32 v11, v1, v18
	v_fmamk_f32 v1, v10, 0xbf5db3d7, v57
	v_fmamk_f32 v12, v9, 0x3f5db3d7, v56
	v_fmamk_f32 v16, v6, 0x3f5db3d7, v14
	v_fmamk_f32 v17, v4, 0xbf5db3d7, v15
	v_lshlrev_b32_sdwa v18, v87, v0 dst_sel:DWORD dst_unused:UNUSED_PAD src0_sel:DWORD src1_sel:WORD_0
	v_mul_f32_e32 v13, 0x3f5db3d7, v1
	v_add_f32_e32 v0, v5, v11
	v_fmac_f32_e32 v56, 0xbf5db3d7, v9
	v_fmac_f32_e32 v57, 0x3f5db3d7, v10
	v_fmac_f32_e32 v15, 0x3f5db3d7, v4
	v_fmac_f32_e32 v13, 0.5, v12
	v_mul_f32_e32 v12, 0xbf5db3d7, v12
	v_mul_f32_e32 v4, -0.5, v56
	v_fmac_f32_e32 v14, 0xbf5db3d7, v6
	v_sub_f32_e32 v9, v54, v64
	v_add_f32_e32 v2, v16, v13
	v_fmac_f32_e32 v12, 0.5, v1
	v_add_f32_e32 v1, v7, v8
	v_fmac_f32_e32 v4, 0x3f5db3d7, v57
	v_sub_f32_e32 v6, v52, v63
	buffer_store_dword v18, off, s[20:23], 0 offset:120 ; 4-byte Folded Spill
	v_add_f32_e32 v3, v17, v12
	ds_write2_b64 v18, v[0:1], v[2:3] offset1:6
	v_sub_f32_e32 v0, v5, v11
	v_mul_f32_e32 v5, -0.5, v57
	v_sub_f32_e32 v1, v7, v8
	v_add_f32_e32 v2, v14, v4
	v_add_f32_e32 v8, v54, v64
	v_fmac_f32_e32 v5, 0xbf5db3d7, v56
	v_add_f32_e32 v3, v15, v5
	ds_write2_b64 v18, v[2:3], v[0:1] offset0:12 offset1:18
	v_sub_f32_e32 v0, v16, v13
	v_sub_f32_e32 v1, v17, v12
	;; [unrolled: 1-line block ×5, first 2 shown]
	ds_write2_b64 v18, v[0:1], v[2:3] offset0:24 offset1:30
	v_add_f32_e32 v1, v75, v55
	v_add_f32_e32 v3, v52, v63
	;; [unrolled: 1-line block ×3, first 2 shown]
	v_mad_u16 v0, v37, 36, v38
	v_add_f32_e32 v5, v1, v65
	v_add_f32_e32 v1, v76, v52
	v_fmac_f32_e32 v76, -0.5, v3
	v_add_f32_e32 v3, v42, v53
	v_fma_f32 v14, -0.5, v2, v75
	v_lshlrev_b32_sdwa v17, v87, v0 dst_sel:DWORD dst_unused:UNUSED_PAD src0_sel:DWORD src1_sel:WORD_0
	v_add_f32_e32 v7, v1, v63
	v_add_f32_e32 v1, v53, v62
	;; [unrolled: 1-line block ×3, first 2 shown]
	v_fmamk_f32 v15, v6, 0x3f5db3d7, v14
	v_fmamk_f32 v16, v4, 0xbf5db3d7, v76
	v_fmac_f32_e32 v76, 0x3f5db3d7, v4
	v_fmac_f32_e32 v42, -0.5, v1
	v_add_f32_e32 v1, v41, v54
	v_fmac_f32_e32 v41, -0.5, v8
	v_sub_f32_e32 v8, v53, v62
	v_fmac_f32_e32 v14, 0xbf5db3d7, v6
	buffer_store_dword v17, off, s[20:23], 0 offset:116 ; 4-byte Folded Spill
	v_add_f32_e32 v10, v1, v64
	v_fmamk_f32 v1, v9, 0xbf5db3d7, v42
	v_fmamk_f32 v3, v8, 0x3f5db3d7, v41
	v_fmac_f32_e32 v41, 0xbf5db3d7, v8
	v_fmac_f32_e32 v42, 0x3f5db3d7, v9
	v_add_f32_e32 v0, v5, v10
	v_mul_f32_e32 v12, 0x3f5db3d7, v1
	v_mul_f32_e32 v13, 0xbf5db3d7, v3
	v_mul_f32_e32 v4, -0.5, v41
	v_fmac_f32_e32 v12, 0.5, v3
	v_fmac_f32_e32 v13, 0.5, v1
	v_add_f32_e32 v1, v7, v11
	v_fmac_f32_e32 v4, 0x3f5db3d7, v42
	v_add_f32_e32 v2, v15, v12
	v_add_f32_e32 v3, v16, v13
	ds_write2_b64 v17, v[0:1], v[2:3] offset1:6
	v_sub_f32_e32 v0, v5, v10
	v_mul_f32_e32 v5, -0.5, v42
	v_sub_f32_e32 v1, v7, v11
	v_add_f32_e32 v2, v14, v4
	v_fmac_f32_e32 v5, 0xbf5db3d7, v41
	v_mov_b32_e32 v41, v239
	v_add_f32_e32 v3, v76, v5
	ds_write2_b64 v17, v[2:3], v[0:1] offset0:12 offset1:18
	v_sub_f32_e32 v1, v76, v5
	v_sub_f32_e32 v0, v14, v4
	;; [unrolled: 1-line block ×4, first 2 shown]
	v_mov_b32_e32 v4, 0xe38f
	ds_write2_b64 v17, v[2:3], v[0:1] offset0:24 offset1:30
	v_mul_u32_u24_sdwa v1, v92, v4 dst_sel:DWORD dst_unused:UNUSED_PAD src0_sel:WORD_0 src1_sel:DWORD
	v_mul_lo_u16 v0, v32, 57
	s_waitcnt lgkmcnt(0)
	s_waitcnt_vscnt null, 0x0
	s_barrier
	buffer_gl0_inv
	v_lshrrev_b32_e32 v64, 21, v1
	v_lshrrev_b16 v79, 11, v0
	v_mul_lo_u16 v0, v64, 36
	v_sub_nc_u16 v65, v92, v0
	v_mul_lo_u16 v0, v79, 36
	v_mul_lo_u16 v1, v65, 40
	v_sub_nc_u16 v0, v86, v0
	v_and_b32_e32 v1, 0xffff, v1
	v_and_b32_e32 v80, 0xff, v0
	v_add_co_u32 v0, s8, s10, v1
	v_mad_u64_u32 v[2:3], null, v80, 40, s[10:11]
	v_add_co_ci_u32_e64 v1, null, s11, 0, s8
	s_clause 0x3
	global_load_dwordx2 v[169:170], v[2:3], off offset:272
	global_load_dwordx4 v[128:131], v[2:3], off offset:240
	global_load_dwordx4 v[132:135], v[2:3], off offset:256
	;; [unrolled: 1-line block ×3, first 2 shown]
	ds_read2_b64 v[36:39], v243 offset0:64 offset1:208
	ds_read2_b64 v[49:52], v230 offset0:64 offset1:208
	s_waitcnt vmcnt(2) lgkmcnt(1)
	v_mul_f32_e32 v2, v37, v129
	v_mul_f32_e32 v6, v36, v129
	s_waitcnt vmcnt(0)
	v_mul_f32_e32 v8, v38, v149
	s_waitcnt lgkmcnt(0)
	v_mul_f32_e32 v14, v49, v133
	v_fma_f32 v5, v36, v128, -v2
	v_mul_f32_e32 v2, v39, v149
	v_fmac_f32_e32 v6, v37, v128
	v_fmac_f32_e32 v8, v39, v148
	v_fmac_f32_e32 v14, v50, v132
	v_fma_f32 v7, v38, v148, -v2
	ds_read2_b64 v[36:39], v215 offset1:144
	s_clause 0x1
	global_load_dwordx2 v[175:176], v[0:1], off offset:272
	global_load_dwordx4 v[171:174], v[0:1], off offset:256
	s_waitcnt lgkmcnt(0)
	v_mul_f32_e32 v2, v37, v131
	v_mul_f32_e32 v10, v36, v131
	;; [unrolled: 1-line block ×3, first 2 shown]
	v_fma_f32 v9, v36, v130, -v2
	v_mul_f32_e32 v2, v39, v151
	v_fmac_f32_e32 v10, v37, v130
	v_fmac_f32_e32 v12, v39, v150
	v_fma_f32 v11, v38, v150, -v2
	v_mul_f32_e32 v2, v50, v133
	v_fma_f32 v13, v49, v132, -v2
	s_waitcnt vmcnt(0)
	v_mul_f32_e32 v0, v52, v172
	v_mul_f32_e32 v16, v51, v172
	v_fma_f32 v15, v51, v171, -v0
	v_fmac_f32_e32 v16, v52, v171
	ds_read2_b64 v[49:52], v204 offset1:144
	s_waitcnt lgkmcnt(0)
	v_mul_f32_e32 v0, v50, v135
	v_mul_f32_e32 v18, v49, v135
	;; [unrolled: 1-line block ×3, first 2 shown]
	v_fma_f32 v17, v49, v134, -v0
	v_mul_f32_e32 v0, v52, v174
	v_fmac_f32_e32 v18, v50, v134
	v_fmac_f32_e32 v20, v52, v173
	v_fma_f32 v19, v51, v173, -v0
	ds_read2_b64 v[49:52], v216 offset0:64 offset1:208
	v_sub_f32_e32 v36, v10, v18
	s_waitcnt lgkmcnt(0)
	v_mul_f32_e32 v0, v50, v170
	v_mul_f32_e32 v24, v51, v176
	;; [unrolled: 1-line block ×3, first 2 shown]
	v_fma_f32 v21, v49, v169, -v0
	v_mul_f32_e32 v0, v52, v176
	v_fmac_f32_e32 v24, v52, v175
	v_fmac_f32_e32 v22, v50, v169
	v_fma_f32 v23, v51, v175, -v0
	v_mul_u32_u24_sdwa v0, v48, v4 dst_sel:DWORD dst_unused:UNUSED_PAD src0_sel:WORD_0 src1_sel:DWORD
	v_lshrrev_b32_e32 v25, 21, v0
	v_mul_lo_u16 v0, v25, 36
	v_sub_nc_u16 v26, v48, v0
	v_mul_u32_u24_sdwa v0, v72, v4 dst_sel:DWORD dst_unused:UNUSED_PAD src0_sel:WORD_0 src1_sel:DWORD
	v_lshrrev_b32_e32 v52, 21, v0
	v_mul_lo_u16 v0, v52, 36
	v_sub_nc_u16 v53, v72, v0
	v_mul_lo_u16 v0, v26, 40
	v_mul_lo_u16 v1, v53, 40
	v_and_b32_e32 v0, 0xffff, v0
	v_and_b32_e32 v2, 0xffff, v1
	v_add_co_u32 v0, s8, s10, v0
	v_add_co_ci_u32_e64 v1, null, s11, 0, s8
	v_add_co_u32 v2, s8, s10, v2
	v_add_co_ci_u32_e64 v3, null, s11, 0, s8
	s_clause 0x2
	global_load_dwordx2 v[179:180], v[0:1], off offset:272
	global_load_dwordx4 v[68:71], v[0:1], off offset:240
	global_load_dwordx4 v[112:115], v[0:1], off offset:256
	ds_read2_b64 v[54:57], v239 offset0:96 offset1:240
	ds_read2_b64 v[73:76], v218 offset0:96 offset1:240
	global_load_dwordx4 v[60:63], v[2:3], off offset:240
	v_add_f32_e32 v1, v9, v17
	s_waitcnt vmcnt(2) lgkmcnt(1)
	v_mul_f32_e32 v0, v55, v69
	v_mul_f32_e32 v27, v54, v69
	s_waitcnt vmcnt(1) lgkmcnt(0)
	v_mul_f32_e32 v31, v73, v113
	v_fma_f32 v4, v54, v68, -v0
	v_fmac_f32_e32 v27, v55, v68
	s_waitcnt vmcnt(0)
	v_mul_f32_e32 v0, v57, v61
	v_mul_f32_e32 v55, v56, v61
	v_fmac_f32_e32 v31, v74, v112
	v_fma_f32 v54, v56, v60, -v0
	v_fmac_f32_e32 v55, v57, v60
	ds_read2_b64 v[56:59], v242 offset0:32 offset1:176
	s_waitcnt lgkmcnt(0)
	v_mul_f32_e32 v0, v57, v71
	v_mul_f32_e32 v29, v56, v71
	;; [unrolled: 1-line block ×3, first 2 shown]
	v_fma_f32 v28, v56, v70, -v0
	v_mul_f32_e32 v0, v59, v63
	v_fmac_f32_e32 v29, v57, v70
	v_fmac_f32_e32 v66, v59, v62
	v_fma_f32 v67, v58, v62, -v0
	s_clause 0x1
	global_load_dwordx2 v[185:186], v[2:3], off offset:272
	global_load_dwordx4 v[56:59], v[2:3], off offset:256
	v_mul_f32_e32 v0, v74, v113
	ds_read2_b64 v[81:84], v219 offset0:96 offset1:240
	v_add_f32_e32 v2, v10, v18
	v_add_f32_e32 v3, v6, v14
	ds_read2_b64 v[88:91], v255 offset0:32 offset1:176
	v_fma_f32 v30, v73, v112, -v0
	s_waitcnt lgkmcnt(1)
	v_mul_f32_e32 v35, v81, v180
	v_fmac_f32_e32 v35, v82, v179
	s_waitcnt vmcnt(0)
	v_mul_f32_e32 v0, v76, v57
	v_mul_f32_e32 v73, v75, v57
	v_fma_f32 v74, v75, v56, -v0
	v_fmac_f32_e32 v73, v76, v56
	ds_read2_b64 v[75:78], v77 offset0:32 offset1:176
	s_waitcnt lgkmcnt(0)
	v_mul_f32_e32 v0, v76, v115
	v_mul_f32_e32 v33, v75, v115
	v_fma_f32 v32, v75, v114, -v0
	v_mul_f32_e32 v0, v78, v59
	v_fmac_f32_e32 v33, v76, v114
	v_mul_f32_e32 v75, v77, v59
	v_fma_f32 v76, v77, v58, -v0
	v_mul_f32_e32 v0, v82, v180
	v_fmac_f32_e32 v75, v78, v58
	;; [unrolled: 4-line block ×3, first 2 shown]
	v_fma_f32 v78, v83, v185, -v0
	v_mov_b32_e32 v0, 0xd8
	v_mul_u32_u24_sdwa v0, v79, v0 dst_sel:DWORD dst_unused:UNUSED_PAD src0_sel:WORD_0 src1_sel:DWORD
	v_add_lshl_u32 v40, v0, v80, 3
	ds_read2_b64 v[79:82], v203 offset1:144
	s_waitcnt lgkmcnt(0)
	s_barrier
	buffer_gl0_inv
	buffer_store_dword v85, off, s[20:23], 0 offset:88 ; 4-byte Folded Spill
	buffer_store_dword v40, off, s[20:23], 0 offset:136 ; 4-byte Folded Spill
	v_add_f32_e32 v0, v79, v9
	v_sub_f32_e32 v9, v9, v17
	v_fma_f32 v39, -0.5, v2, v80
	v_fma_f32 v38, -0.5, v1, v79
	v_add_f32_e32 v17, v0, v17
	v_add_f32_e32 v0, v80, v10
	v_fmamk_f32 v80, v9, 0xbf5db3d7, v39
	v_fmac_f32_e32 v39, 0x3f5db3d7, v9
	v_fmamk_f32 v79, v36, 0x3f5db3d7, v38
	v_fmac_f32_e32 v38, 0xbf5db3d7, v36
	v_add_f32_e32 v10, v0, v18
	v_add_f32_e32 v0, v14, v22
	;; [unrolled: 1-line block ×3, first 2 shown]
	v_sub_f32_e32 v14, v14, v22
	v_fmac_f32_e32 v6, -0.5, v0
	v_add_f32_e32 v0, v5, v13
	v_sub_f32_e32 v13, v13, v21
	v_fmac_f32_e32 v5, -0.5, v18
	v_add_f32_e32 v18, v3, v22
	v_add_f32_e32 v21, v0, v21
	v_fmamk_f32 v0, v13, 0xbf5db3d7, v6
	v_fmamk_f32 v3, v14, 0x3f5db3d7, v5
	v_fmac_f32_e32 v5, 0xbf5db3d7, v14
	v_fmac_f32_e32 v6, 0x3f5db3d7, v13
	v_add_f32_e32 v1, v10, v18
	v_mul_f32_e32 v22, 0x3f5db3d7, v0
	v_mul_f32_e32 v37, 0xbf5db3d7, v3
	v_mul_f32_e32 v9, -0.5, v5
	v_fmac_f32_e32 v22, 0.5, v3
	v_fmac_f32_e32 v37, 0.5, v0
	v_fmac_f32_e32 v9, 0x3f5db3d7, v6
	v_mul_f32_e32 v6, -0.5, v6
	v_add_f32_e32 v0, v17, v21
	v_add_f32_e32 v2, v79, v22
	;; [unrolled: 1-line block ×3, first 2 shown]
	v_fmac_f32_e32 v6, 0xbf5db3d7, v5
	v_sub_f32_e32 v5, v11, v19
	ds_write2_b64 v40, v[0:1], v[2:3] offset1:36
	v_sub_f32_e32 v0, v17, v21
	v_sub_f32_e32 v1, v10, v18
	v_add_f32_e32 v2, v38, v9
	v_add_f32_e32 v3, v39, v6
	ds_write2_b64 v40, v[2:3], v[0:1] offset0:72 offset1:108
	v_sub_f32_e32 v0, v79, v22
	v_sub_f32_e32 v1, v80, v37
	;; [unrolled: 1-line block ×5, first 2 shown]
	ds_write2_b64 v40, v[0:1], v[2:3] offset0:144 offset1:180
	v_add_f32_e32 v1, v81, v11
	v_add_f32_e32 v2, v11, v19
	;; [unrolled: 1-line block ×4, first 2 shown]
	v_mad_u16 v0, 0xd8, v64, v65
	v_add_f32_e32 v6, v1, v19
	v_add_f32_e32 v1, v82, v12
	v_fmac_f32_e32 v82, -0.5, v3
	v_add_f32_e32 v3, v8, v16
	v_sub_f32_e32 v12, v15, v23
	v_fma_f32 v17, -0.5, v2, v81
	v_add_f32_e32 v10, v1, v20
	v_add_f32_e32 v1, v16, v24
	;; [unrolled: 1-line block ×3, first 2 shown]
	v_fmamk_f32 v19, v5, 0xbf5db3d7, v82
	v_fmamk_f32 v18, v9, 0x3f5db3d7, v17
	v_lshlrev_b32_sdwa v20, v87, v0 dst_sel:DWORD dst_unused:UNUSED_PAD src0_sel:DWORD src1_sel:WORD_0
	v_fmac_f32_e32 v8, -0.5, v1
	v_add_f32_e32 v1, v7, v15
	v_fmac_f32_e32 v7, -0.5, v11
	v_sub_f32_e32 v11, v16, v24
	v_fmac_f32_e32 v82, 0x3f5db3d7, v5
	v_fmac_f32_e32 v17, 0xbf5db3d7, v9
	v_add_f32_e32 v13, v1, v23
	v_fmamk_f32 v1, v12, 0xbf5db3d7, v8
	v_fmamk_f32 v3, v11, 0x3f5db3d7, v7
	v_fmac_f32_e32 v7, 0xbf5db3d7, v11
	v_fmac_f32_e32 v8, 0x3f5db3d7, v12
	v_add_f32_e32 v0, v6, v13
	v_mul_f32_e32 v15, 0x3f5db3d7, v1
	v_mul_f32_e32 v16, 0xbf5db3d7, v3
	v_mul_f32_e32 v5, -0.5, v7
	v_add_f32_e32 v9, v27, v31
	v_sub_f32_e32 v11, v30, v34
	v_fmac_f32_e32 v15, 0.5, v3
	v_fmac_f32_e32 v16, 0.5, v1
	v_add_f32_e32 v1, v10, v14
	v_fmac_f32_e32 v5, 0x3f5db3d7, v8
	v_add_f32_e32 v9, v9, v35
	v_add_f32_e32 v2, v18, v15
	;; [unrolled: 1-line block ×3, first 2 shown]
	buffer_store_dword v20, off, s[20:23], 0 offset:132 ; 4-byte Folded Spill
	v_mov_b32_e32 v40, v219
	ds_write2_b64 v20, v[0:1], v[2:3] offset1:36
	v_sub_f32_e32 v0, v6, v13
	v_mul_f32_e32 v6, -0.5, v8
	v_sub_f32_e32 v1, v10, v14
	v_add_f32_e32 v2, v17, v5
	v_add_f32_e32 v10, v30, v34
	v_fmac_f32_e32 v6, 0xbf5db3d7, v7
	v_sub_f32_e32 v7, v29, v33
	v_add_f32_e32 v3, v82, v6
	ds_write2_b64 v20, v[2:3], v[0:1] offset0:72 offset1:108
	v_sub_f32_e32 v1, v82, v6
	v_sub_f32_e32 v0, v17, v5
	;; [unrolled: 1-line block ×5, first 2 shown]
	ds_write2_b64 v20, v[2:3], v[0:1] offset0:144 offset1:180
	v_add_f32_e32 v1, v88, v28
	v_add_f32_e32 v2, v28, v32
	v_add_f32_e32 v3, v29, v33
	v_mad_u16 v0, 0xd8, v25, v26
	v_add_f32_e32 v6, v1, v32
	v_add_f32_e32 v1, v89, v29
	v_fma_f32 v15, -0.5, v2, v88
	v_fma_f32 v16, -0.5, v3, v89
	v_lshlrev_b32_sdwa v19, v87, v0 dst_sel:DWORD dst_unused:UNUSED_PAD src0_sel:DWORD src1_sel:WORD_0
	v_add_f32_e32 v8, v1, v33
	v_add_f32_e32 v1, v31, v35
	v_fmamk_f32 v17, v7, 0x3f5db3d7, v15
	v_fmamk_f32 v18, v5, 0xbf5db3d7, v16
	v_fmac_f32_e32 v16, 0x3f5db3d7, v5
	v_fmac_f32_e32 v15, 0xbf5db3d7, v7
	v_fmac_f32_e32 v27, -0.5, v1
	v_add_f32_e32 v1, v4, v30
	v_fmac_f32_e32 v4, -0.5, v10
	v_sub_f32_e32 v10, v31, v35
	buffer_store_dword v19, off, s[20:23], 0 offset:156 ; 4-byte Folded Spill
	v_add_f32_e32 v12, v1, v34
	v_fmamk_f32 v1, v11, 0xbf5db3d7, v27
	v_fmamk_f32 v13, v10, 0x3f5db3d7, v4
	v_fmac_f32_e32 v4, 0xbf5db3d7, v10
	v_fmac_f32_e32 v27, 0x3f5db3d7, v11
	v_add_f32_e32 v0, v6, v12
	v_mul_f32_e32 v14, 0x3f5db3d7, v1
	v_sub_f32_e32 v10, v74, v78
	v_mul_f32_e32 v5, -0.5, v4
	v_fmac_f32_e32 v14, 0.5, v13
	v_mul_f32_e32 v13, 0xbf5db3d7, v13
	v_fmac_f32_e32 v5, 0x3f5db3d7, v27
	v_add_f32_e32 v2, v17, v14
	v_fmac_f32_e32 v13, 0.5, v1
	v_add_f32_e32 v1, v8, v9
	v_add_f32_e32 v3, v18, v13
	ds_write2_b64 v19, v[0:1], v[2:3] offset1:36
	v_sub_f32_e32 v0, v6, v12
	v_mul_f32_e32 v6, -0.5, v27
	v_sub_f32_e32 v1, v8, v9
	v_add_f32_e32 v2, v15, v5
	v_sub_f32_e32 v12, v73, v77
	v_sub_f32_e32 v8, v66, v75
	v_fmac_f32_e32 v6, 0xbf5db3d7, v4
	v_add_f32_e32 v4, v55, v73
	v_add_f32_e32 v3, v16, v6
	;; [unrolled: 1-line block ×3, first 2 shown]
	ds_write2_b64 v19, v[2:3], v[0:1] offset0:72 offset1:108
	v_sub_f32_e32 v0, v17, v14
	v_sub_f32_e32 v1, v18, v13
	;; [unrolled: 1-line block ×4, first 2 shown]
	v_add_f32_e32 v6, v67, v76
	v_sub_f32_e32 v5, v67, v76
	ds_write2_b64 v19, v[0:1], v[2:3] offset0:144 offset1:180
	v_add_f32_e32 v1, v66, v75
	v_add_f32_e32 v2, v91, v66
	;; [unrolled: 1-line block ×3, first 2 shown]
	v_fma_f32 v6, -0.5, v6, v90
	v_mad_u16 v0, 0xd8, v52, v53
	v_fmac_f32_e32 v91, -0.5, v1
	v_add_f32_e32 v1, v74, v78
	v_add_f32_e32 v9, v2, v75
	;; [unrolled: 1-line block ×3, first 2 shown]
	v_fmamk_f32 v15, v8, 0x3f5db3d7, v6
	v_fmamk_f32 v16, v5, 0xbf5db3d7, v91
	v_fmac_f32_e32 v54, -0.5, v1
	v_add_f32_e32 v1, v73, v77
	v_lshlrev_b32_sdwa v17, v87, v0 dst_sel:DWORD dst_unused:UNUSED_PAD src0_sel:DWORD src1_sel:WORD_0
	v_fmac_f32_e32 v91, 0x3f5db3d7, v5
	v_fmac_f32_e32 v6, 0xbf5db3d7, v8
	v_fmamk_f32 v2, v12, 0x3f5db3d7, v54
	v_fmac_f32_e32 v55, -0.5, v1
	v_add_f32_e32 v1, v90, v67
	v_fmac_f32_e32 v54, 0xbf5db3d7, v12
	buffer_store_dword v17, off, s[20:23], 0 offset:140 ; 4-byte Folded Spill
	v_mul_f32_e32 v14, 0xbf5db3d7, v2
	v_mov_b32_e32 v19, 0x12f7
	v_add_f32_e32 v7, v1, v76
	v_fmamk_f32 v1, v10, 0xbf5db3d7, v55
	v_fmac_f32_e32 v55, 0x3f5db3d7, v10
	v_mul_f32_e32 v5, -0.5, v54
	v_add_f32_e32 v0, v7, v11
	v_mul_f32_e32 v13, 0x3f5db3d7, v1
	v_fmac_f32_e32 v14, 0.5, v1
	v_add_f32_e32 v1, v9, v4
	v_fmac_f32_e32 v5, 0x3f5db3d7, v55
	v_fmac_f32_e32 v13, 0.5, v2
	v_add_f32_e32 v3, v16, v14
	v_add_f32_e32 v2, v15, v13
	ds_write2_b64 v17, v[0:1], v[2:3] offset1:36
	v_sub_f32_e32 v1, v9, v4
	v_mul_f32_e32 v4, -0.5, v55
	v_sub_f32_e32 v0, v7, v11
	v_add_f32_e32 v2, v6, v5
	v_fmac_f32_e32 v4, 0xbf5db3d7, v54
	v_add_f32_e32 v3, v91, v4
	ds_write2_b64 v17, v[2:3], v[0:1] offset0:72 offset1:108
	v_sub_f32_e32 v1, v91, v4
	v_sub_f32_e32 v0, v6, v5
	;; [unrolled: 1-line block ×4, first 2 shown]
	ds_write2_b64 v17, v[2:3], v[0:1] offset0:144 offset1:180
	v_add_nc_u32_e32 v0, 0xffffffb8, v85
	v_mad_u64_u32 v[84:85], null, v85, 24, s[10:11]
	s_waitcnt lgkmcnt(0)
	s_waitcnt_vscnt null, 0x0
	s_barrier
	v_cndmask_b32_e32 v8, v0, v92, vcc_lo
	buffer_gl0_inv
	s_clause 0x1
	global_load_dwordx2 v[161:162], v[84:85], off offset:1696
	global_load_dwordx4 v[64:67], v[84:85], off offset:1680
	v_mul_i32_i24_e32 v0, 24, v8
	v_mul_hi_i32_i24_e32 v1, 24, v8
	ds_read2_b64 v[73:76], v239 offset0:96 offset1:240
	v_add_co_u32 v0, vcc_lo, s10, v0
	v_add_co_ci_u32_e32 v1, vcc_lo, s11, v1, vcc_lo
	s_clause 0x1
	global_load_dwordx2 v[163:164], v[0:1], off offset:1696
	global_load_dwordx4 v[52:55], v[0:1], off offset:1680
	s_waitcnt vmcnt(2) lgkmcnt(0)
	v_mul_f32_e32 v2, v74, v65
	v_mul_f32_e32 v7, v73, v65
	v_fma_f32 v6, v73, v64, -v2
	v_fmac_f32_e32 v7, v74, v64
	s_waitcnt vmcnt(0)
	v_mul_f32_e32 v0, v76, v53
	v_mul_f32_e32 v10, v75, v53
	v_fma_f32 v9, v75, v52, -v0
	v_fmac_f32_e32 v10, v76, v52
	ds_read2_b64 v[73:76], v230 offset0:64 offset1:208
	s_waitcnt lgkmcnt(0)
	v_mul_f32_e32 v0, v74, v67
	v_mul_f32_e32 v12, v73, v67
	;; [unrolled: 1-line block ×3, first 2 shown]
	v_fma_f32 v11, v73, v66, -v0
	v_mul_f32_e32 v0, v76, v55
	v_fmac_f32_e32 v12, v74, v66
	v_fmac_f32_e32 v14, v76, v54
	v_fma_f32 v13, v75, v54, -v0
	ds_read2_b64 v[73:76], v45 offset0:32 offset1:176
	s_waitcnt lgkmcnt(0)
	v_mul_f32_e32 v0, v74, v162
	v_mul_f32_e32 v18, v75, v164
	;; [unrolled: 1-line block ×3, first 2 shown]
	v_fma_f32 v15, v73, v161, -v0
	v_mul_f32_e32 v0, v76, v164
	v_fmac_f32_e32 v18, v76, v163
	v_fmac_f32_e32 v16, v74, v161
	v_fma_f32 v17, v75, v163, -v0
	v_lshrrev_b16 v0, 3, v72
	v_mul_u32_u24_sdwa v0, v0, v19 dst_sel:DWORD dst_unused:UNUSED_PAD src0_sel:WORD_0 src1_sel:DWORD
	v_lshrrev_b32_e32 v0, 17, v0
	v_mul_lo_u16 v0, 0xd8, v0
	v_sub_nc_u16 v20, v72, v0
	v_add_co_u32 v0, vcc_lo, 0x800, v84
	v_add_co_ci_u32_e32 v1, vcc_lo, 0, v85, vcc_lo
	v_mul_lo_u16 v2, v20, 24
	v_and_b32_e32 v4, 0xffff, v2
	v_add_co_u32 v2, vcc_lo, 0xd50, v84
	v_add_co_ci_u32_e32 v3, vcc_lo, 0, v85, vcc_lo
	v_add_co_u32 v4, s8, s10, v4
	v_add_co_ci_u32_e64 v5, null, s11, 0, s8
	s_clause 0x1
	global_load_dwordx2 v[177:178], v[2:3], off offset:16
	global_load_dwordx4 v[76:79], v[0:1], off offset:1360
	ds_read2_b64 v[80:83], v215 offset1:144
	s_clause 0x1
	global_load_dwordx2 v[181:182], v[4:5], off offset:1696
	global_load_dwordx4 v[72:75], v[4:5], off offset:1680
	v_add_nc_u16 v2, v86, 0x2d0
	v_cmp_lt_u16_e32 vcc_lo, 0x47, v86
	v_lshrrev_b16 v3, 3, v2
	v_mul_u32_u24_sdwa v3, v3, v19 dst_sel:DWORD dst_unused:UNUSED_PAD src0_sel:WORD_0 src1_sel:DWORD
	s_waitcnt vmcnt(2) lgkmcnt(0)
	v_mul_f32_e32 v0, v81, v77
	v_mul_f32_e32 v22, v80, v77
	s_waitcnt vmcnt(0)
	v_mul_f32_e32 v24, v82, v73
	v_fma_f32 v21, v80, v76, -v0
	v_mul_f32_e32 v0, v83, v73
	v_fmac_f32_e32 v22, v81, v76
	v_fmac_f32_e32 v24, v83, v72
	v_fma_f32 v23, v82, v72, -v0
	ds_read2_b64 v[80:83], v218 offset0:96 offset1:240
	s_waitcnt lgkmcnt(0)
	v_mul_f32_e32 v0, v81, v79
	v_mul_f32_e32 v26, v80, v79
	;; [unrolled: 1-line block ×3, first 2 shown]
	v_fma_f32 v25, v80, v78, -v0
	v_mul_f32_e32 v0, v83, v75
	v_fmac_f32_e32 v26, v81, v78
	v_fmac_f32_e32 v28, v83, v74
	v_fma_f32 v27, v82, v74, -v0
	ds_read2_b64 v[80:83], v216 offset0:64 offset1:208
	s_waitcnt lgkmcnt(0)
	v_mul_f32_e32 v0, v81, v178
	v_mul_f32_e32 v30, v80, v178
	;; [unrolled: 1-line block ×3, first 2 shown]
	v_fma_f32 v29, v80, v177, -v0
	v_mul_f32_e32 v0, v83, v182
	v_fmac_f32_e32 v30, v81, v177
	v_fmac_f32_e32 v32, v83, v181
	v_fma_f32 v31, v82, v181, -v0
	v_add_nc_u16 v0, v86, 0x240
	v_lshrrev_b16 v1, 3, v0
	v_mul_u32_u24_sdwa v1, v1, v19 dst_sel:DWORD dst_unused:UNUSED_PAD src0_sel:WORD_0 src1_sel:DWORD
	v_lshrrev_b32_e32 v19, 17, v1
	v_mul_lo_u16 v1, 0xd8, v19
	v_sub_nc_u16 v33, v0, v1
	v_lshrrev_b32_e32 v0, 17, v3
	v_mul_lo_u16 v0, 0xd8, v0
	v_sub_nc_u16 v34, v2, v0
	v_mul_lo_u16 v0, v33, 24
	v_mul_lo_u16 v1, v34, 24
	v_and_b32_e32 v0, 0xffff, v0
	v_and_b32_e32 v2, 0xffff, v1
	v_add_co_u32 v0, s8, s10, v0
	v_add_co_ci_u32_e64 v1, null, s11, 0, s8
	v_add_co_u32 v2, s8, s10, v2
	v_add_co_ci_u32_e64 v3, null, s11, 0, s8
	s_clause 0x1
	global_load_dwordx2 v[189:190], v[0:1], off offset:1696
	global_load_dwordx4 v[88:91], v[0:1], off offset:1680
	ds_read2_b64 v[93:96], v242 offset0:32 offset1:176
	s_clause 0x1
	global_load_dwordx2 v[191:192], v[2:3], off offset:1696
	global_load_dwordx4 v[80:83], v[2:3], off offset:1680
	v_sub_f32_e32 v1, v6, v15
	v_fma_f32 v2, v6, 2.0, -v1
	s_waitcnt vmcnt(2) lgkmcnt(0)
	v_mul_f32_e32 v0, v94, v89
	v_mul_f32_e32 v36, v93, v89
	s_waitcnt vmcnt(0)
	v_mul_f32_e32 v38, v95, v81
	v_fma_f32 v35, v93, v88, -v0
	v_mul_f32_e32 v0, v96, v81
	v_fmac_f32_e32 v36, v94, v88
	v_fmac_f32_e32 v38, v96, v80
	v_fma_f32 v37, v95, v80, -v0
	ds_read2_b64 v[93:96], v204 offset1:144
	s_waitcnt lgkmcnt(0)
	v_mul_f32_e32 v0, v94, v91
	v_mul_f32_e32 v105, v93, v91
	;; [unrolled: 1-line block ×3, first 2 shown]
	v_fma_f32 v39, v93, v90, -v0
	v_mul_f32_e32 v0, v96, v83
	v_fmac_f32_e32 v105, v94, v90
	v_fmac_f32_e32 v107, v96, v82
	v_fma_f32 v106, v95, v82, -v0
	ds_read2_b64 v[93:96], v219 offset0:96 offset1:240
	s_waitcnt lgkmcnt(0)
	v_mul_f32_e32 v0, v94, v190
	v_mul_f32_e32 v109, v93, v190
	;; [unrolled: 1-line block ×3, first 2 shown]
	v_fma_f32 v108, v93, v189, -v0
	v_mul_f32_e32 v0, v96, v192
	v_fmac_f32_e32 v109, v94, v189
	v_fmac_f32_e32 v111, v96, v191
	v_fma_f32 v110, v95, v191, -v0
	ds_read2_b64 v[93:96], v203 offset1:144
	v_sub_f32_e32 v0, v7, v16
	ds_read2_b64 v[97:100], v255 offset0:32 offset1:176
	ds_read2_b64 v[101:104], v243 offset0:64 offset1:208
	s_waitcnt lgkmcnt(0)
	s_barrier
	buffer_gl0_inv
	v_fma_f32 v3, v7, 2.0, -v0
	v_sub_f32_e32 v4, v93, v11
	v_sub_f32_e32 v5, v94, v12
	v_fma_f32 v6, v93, 2.0, -v4
	v_fma_f32 v7, v94, 2.0, -v5
	v_sub_f32_e32 v0, v4, v0
	v_add_f32_e32 v1, v5, v1
	v_sub_f32_e32 v2, v6, v2
	v_sub_f32_e32 v3, v7, v3
	v_fma_f32 v4, v4, 2.0, -v0
	v_fma_f32 v5, v5, 2.0, -v1
	;; [unrolled: 1-line block ×4, first 2 shown]
	ds_write2_b64 v203, v[6:7], v[4:5] offset1:216
	v_add_nc_u32_e32 v4, 0xd00, v203
	v_sub_f32_e32 v5, v96, v14
	ds_write2_b64 v4, v[2:3], v[0:1] offset0:16 offset1:232
	v_sub_f32_e32 v4, v95, v13
	v_sub_f32_e32 v1, v9, v17
	;; [unrolled: 1-line block ×3, first 2 shown]
	v_fma_f32 v7, v96, 2.0, -v5
	v_fma_f32 v6, v95, 2.0, -v4
	;; [unrolled: 1-line block ×4, first 2 shown]
	v_sub_f32_e32 v0, v4, v0
	v_add_f32_e32 v1, v5, v1
	v_cndmask_b32_e64 v9, 0, 0x360, vcc_lo
	v_sub_f32_e32 v2, v6, v2
	v_sub_f32_e32 v3, v7, v3
	v_fma_f32 v4, v4, 2.0, -v0
	v_fma_f32 v5, v5, 2.0, -v1
	v_add_lshl_u32 v8, v8, v9, 3
	v_fma_f32 v6, v6, 2.0, -v2
	v_fma_f32 v7, v7, 2.0, -v3
	buffer_store_dword v8, off, s[20:23], 0 offset:148 ; 4-byte Folded Spill
	ds_write2_b64 v8, v[6:7], v[4:5] offset1:216
	v_add_nc_u32_e32 v4, 0xd00, v8
	v_sub_f32_e32 v5, v98, v26
	v_add_nc_u32_e32 v8, 0x1d00, v203
	buffer_store_dword v4, off, s[20:23], 0 offset:144 ; 4-byte Folded Spill
	ds_write2_b64 v4, v[2:3], v[0:1] offset0:16 offset1:232
	v_sub_f32_e32 v1, v21, v29
	v_sub_f32_e32 v0, v22, v30
	;; [unrolled: 1-line block ×3, first 2 shown]
	v_fma_f32 v7, v98, 2.0, -v5
	v_fma_f32 v2, v21, 2.0, -v1
	v_fma_f32 v3, v22, 2.0, -v0
	v_fma_f32 v6, v97, 2.0, -v4
	v_sub_f32_e32 v0, v4, v0
	v_add_f32_e32 v1, v5, v1
	v_sub_f32_e32 v3, v7, v3
	v_sub_f32_e32 v2, v6, v2
	v_fma_f32 v4, v4, 2.0, -v0
	v_fma_f32 v5, v5, 2.0, -v1
	;; [unrolled: 1-line block ×4, first 2 shown]
	ds_write2_b64 v8, v[6:7], v[4:5] offset0:8 offset1:224
	v_add_nc_u32_e32 v4, 0x2a00, v203
	v_sub_f32_e32 v5, v100, v28
	v_lshlrev_b32_sdwa v8, v87, v20 dst_sel:DWORD dst_unused:UNUSED_PAD src0_sel:DWORD src1_sel:WORD_0
	ds_write2_b64 v4, v[2:3], v[0:1] offset0:24 offset1:240
	v_sub_f32_e32 v4, v99, v27
	v_sub_f32_e32 v1, v23, v31
	;; [unrolled: 1-line block ×3, first 2 shown]
	v_fma_f32 v7, v100, 2.0, -v5
	v_add_nc_u32_e32 v9, 0x3600, v8
	v_fma_f32 v6, v99, 2.0, -v4
	v_fma_f32 v2, v23, 2.0, -v1
	;; [unrolled: 1-line block ×3, first 2 shown]
	v_sub_f32_e32 v0, v4, v0
	v_add_f32_e32 v1, v5, v1
	buffer_store_dword v9, off, s[20:23], 0 offset:152 ; 4-byte Folded Spill
	v_sub_f32_e32 v2, v6, v2
	v_sub_f32_e32 v3, v7, v3
	v_fma_f32 v4, v4, 2.0, -v0
	v_fma_f32 v5, v5, 2.0, -v1
	;; [unrolled: 1-line block ×4, first 2 shown]
	ds_write2_b64 v9, v[6:7], v[4:5] offset1:216
	v_add_nc_u32_e32 v4, 0x4300, v8
	v_sub_f32_e32 v5, v102, v105
	v_mad_u16 v8, 0x360, v19, v33
	buffer_store_dword v4, off, s[20:23], 0 offset:160 ; 4-byte Folded Spill
	ds_write2_b64 v4, v[2:3], v[0:1] offset0:16 offset1:232
	v_sub_f32_e32 v1, v35, v108
	v_sub_f32_e32 v0, v36, v109
	;; [unrolled: 1-line block ×3, first 2 shown]
	v_fma_f32 v7, v102, 2.0, -v5
	v_lshlrev_b32_sdwa v8, v87, v8 dst_sel:DWORD dst_unused:UNUSED_PAD src0_sel:DWORD src1_sel:WORD_0
	v_fma_f32 v2, v35, 2.0, -v1
	v_fma_f32 v3, v36, 2.0, -v0
	;; [unrolled: 1-line block ×3, first 2 shown]
	v_sub_f32_e32 v0, v4, v0
	v_add_f32_e32 v1, v5, v1
	buffer_store_dword v8, off, s[20:23], 0 offset:176 ; 4-byte Folded Spill
	v_sub_f32_e32 v3, v7, v3
	v_sub_f32_e32 v2, v6, v2
	v_fma_f32 v4, v4, 2.0, -v0
	v_fma_f32 v5, v5, 2.0, -v1
	;; [unrolled: 1-line block ×4, first 2 shown]
	ds_write2_b64 v8, v[6:7], v[4:5] offset1:216
	v_add_nc_u32_e32 v4, 0xd00, v8
	v_sub_f32_e32 v5, v104, v107
	v_lshlrev_b32_sdwa v8, v87, v34 dst_sel:DWORD dst_unused:UNUSED_PAD src0_sel:DWORD src1_sel:WORD_0
	buffer_store_dword v4, off, s[20:23], 0 offset:164 ; 4-byte Folded Spill
	ds_write2_b64 v4, v[2:3], v[0:1] offset0:16 offset1:232
	v_sub_f32_e32 v4, v103, v106
	v_sub_f32_e32 v1, v37, v110
	;; [unrolled: 1-line block ×3, first 2 shown]
	v_fma_f32 v7, v104, 2.0, -v5
	v_add_nc_u32_e32 v9, 0x5000, v8
	v_fma_f32 v6, v103, 2.0, -v4
	v_fma_f32 v2, v37, 2.0, -v1
	;; [unrolled: 1-line block ×3, first 2 shown]
	v_sub_f32_e32 v0, v4, v0
	v_add_f32_e32 v1, v5, v1
	buffer_store_dword v9, off, s[20:23], 0 offset:168 ; 4-byte Folded Spill
	v_sub_f32_e32 v2, v6, v2
	v_sub_f32_e32 v3, v7, v3
	v_fma_f32 v4, v4, 2.0, -v0
	v_fma_f32 v5, v5, 2.0, -v1
	;; [unrolled: 1-line block ×4, first 2 shown]
	ds_write2_b64 v9, v[6:7], v[4:5] offset0:32 offset1:248
	v_add_nc_u32_e32 v4, 0x5e00, v8
	buffer_store_dword v4, off, s[20:23], 0 offset:172 ; 4-byte Folded Spill
	ds_write2_b64 v4, v[2:3], v[0:1] offset0:16 offset1:232
	v_mad_u64_u32 v[4:5], null, v92, 24, s[10:11]
	v_add_co_u32 v0, vcc_lo, 0x1800, v84
	v_add_co_ci_u32_e32 v1, vcc_lo, 0, v85, vcc_lo
	v_add_co_u32 v2, vcc_lo, 0x1ad0, v84
	v_add_co_ci_u32_e32 v3, vcc_lo, 0, v85, vcc_lo
	;; [unrolled: 2-line block ×4, first 2 shown]
	s_waitcnt lgkmcnt(0)
	s_waitcnt_vscnt null, 0x0
	s_barrier
	buffer_gl0_inv
	s_clause 0x3
	global_load_dwordx2 v[187:188], v[2:3], off offset:16
	global_load_dwordx2 v[183:184], v[8:9], off offset:16
	global_load_dwordx4 v[92:95], v[0:1], off offset:720
	global_load_dwordx4 v[84:87], v[6:7], off offset:720
	ds_read2_b64 v[96:99], v239 offset0:96 offset1:240
	s_waitcnt vmcnt(1) lgkmcnt(0)
	v_mul_f32_e32 v0, v97, v93
	v_mul_f32_e32 v11, v96, v93
	s_waitcnt vmcnt(0)
	v_mul_f32_e32 v13, v98, v85
	v_fma_f32 v10, v96, v92, -v0
	v_mul_f32_e32 v0, v99, v85
	v_fmac_f32_e32 v11, v97, v92
	v_fmac_f32_e32 v13, v99, v84
	v_fma_f32 v12, v98, v84, -v0
	ds_read2_b64 v[96:99], v230 offset0:64 offset1:208
	s_waitcnt lgkmcnt(0)
	v_mul_f32_e32 v0, v97, v95
	v_mul_f32_e32 v15, v96, v95
	;; [unrolled: 1-line block ×3, first 2 shown]
	v_fma_f32 v14, v96, v94, -v0
	v_mul_f32_e32 v0, v99, v87
	v_fmac_f32_e32 v15, v97, v94
	v_fmac_f32_e32 v17, v99, v86
	v_fma_f32 v16, v98, v86, -v0
	ds_read2_b64 v[96:99], v45 offset0:32 offset1:176
	s_waitcnt lgkmcnt(0)
	v_mul_f32_e32 v0, v97, v188
	v_mul_f32_e32 v19, v96, v188
	;; [unrolled: 1-line block ×3, first 2 shown]
	v_fma_f32 v18, v96, v187, -v0
	v_mul_f32_e32 v0, v99, v184
	v_fmac_f32_e32 v19, v97, v187
	v_fmac_f32_e32 v21, v99, v183
	v_fma_f32 v20, v98, v183, -v0
	v_add_co_u32 v0, vcc_lo, 0x2800, v4
	v_add_co_ci_u32_e32 v1, vcc_lo, 0, v5, vcc_lo
	v_add_co_u32 v2, vcc_lo, 0x2850, v4
	v_add_co_ci_u32_e32 v3, vcc_lo, 0, v5, vcc_lo
	;; [unrolled: 2-line block ×4, first 2 shown]
	s_clause 0x2
	global_load_dwordx2 v[195:196], v[2:3], off offset:16
	global_load_dwordx2 v[193:194], v[6:7], off offset:16
	global_load_dwordx4 v[100:103], v[0:1], off offset:80
	ds_read2_b64 v[104:107], v215 offset1:144
	global_load_dwordx4 v[96:99], v[8:9], off offset:1488
	s_waitcnt vmcnt(1) lgkmcnt(0)
	v_mul_f32_e32 v0, v105, v101
	v_mul_f32_e32 v23, v104, v101
	s_waitcnt vmcnt(0)
	v_mul_f32_e32 v9, v106, v97
	v_fma_f32 v22, v104, v100, -v0
	v_mul_f32_e32 v0, v107, v97
	v_fmac_f32_e32 v23, v105, v100
	v_fmac_f32_e32 v9, v107, v96
	v_fma_f32 v8, v106, v96, -v0
	ds_read2_b64 v[104:107], v218 offset0:96 offset1:240
	s_waitcnt lgkmcnt(0)
	v_mul_f32_e32 v0, v105, v103
	v_mul_f32_e32 v25, v104, v103
	;; [unrolled: 1-line block ×3, first 2 shown]
	v_fma_f32 v24, v104, v102, -v0
	v_mul_f32_e32 v0, v107, v99
	v_fmac_f32_e32 v25, v105, v102
	v_fmac_f32_e32 v27, v107, v98
	v_fma_f32 v26, v106, v98, -v0
	ds_read2_b64 v[104:107], v216 offset0:64 offset1:208
	s_waitcnt lgkmcnt(0)
	v_mul_f32_e32 v0, v105, v196
	v_mul_f32_e32 v29, v104, v196
	;; [unrolled: 1-line block ×3, first 2 shown]
	v_fma_f32 v28, v104, v195, -v0
	v_mul_f32_e32 v0, v107, v194
	v_fmac_f32_e32 v29, v105, v195
	v_fmac_f32_e32 v31, v107, v193
	v_fma_f32 v30, v106, v193, -v0
	v_add_co_u32 v0, vcc_lo, 0x4000, v4
	v_add_co_ci_u32_e32 v1, vcc_lo, 0, v5, vcc_lo
	v_add_co_u32 v2, vcc_lo, 0x4350, v4
	v_add_co_ci_u32_e32 v3, vcc_lo, 0, v5, vcc_lo
	;; [unrolled: 2-line block ×4, first 2 shown]
	s_clause 0x2
	global_load_dwordx2 v[199:200], v[2:3], off offset:16
	global_load_dwordx2 v[197:198], v[6:7], off offset:16
	global_load_dwordx4 v[108:111], v[0:1], off offset:848
	ds_read2_b64 v[244:247], v242 offset0:32 offset1:176
	global_load_dwordx4 v[104:107], v[4:5], off offset:208
	s_waitcnt vmcnt(1) lgkmcnt(0)
	v_mul_f32_e32 v0, v245, v109
	v_mul_f32_e32 v33, v244, v109
	s_waitcnt vmcnt(0)
	v_mul_f32_e32 v35, v246, v105
	v_fma_f32 v32, v244, v108, -v0
	v_mul_f32_e32 v0, v247, v105
	v_fmac_f32_e32 v33, v245, v108
	v_fmac_f32_e32 v35, v247, v104
	v_fma_f32 v34, v246, v104, -v0
	ds_read2_b64 v[244:247], v204 offset1:144
	s_waitcnt lgkmcnt(0)
	v_mul_f32_e32 v0, v245, v111
	v_mul_f32_e32 v37, v244, v111
	;; [unrolled: 1-line block ×3, first 2 shown]
	v_fma_f32 v36, v244, v110, -v0
	v_mul_f32_e32 v0, v247, v107
	v_fmac_f32_e32 v37, v245, v110
	v_fmac_f32_e32 v39, v247, v106
	v_fma_f32 v38, v246, v106, -v0
	ds_read2_b64 v[244:247], v219 offset0:96 offset1:240
	s_waitcnt lgkmcnt(0)
	v_mul_f32_e32 v0, v245, v200
	v_mul_f32_e32 v240, v244, v200
	v_mul_f32_e32 v152, v246, v198
	v_fma_f32 v217, v244, v199, -v0
	v_mul_f32_e32 v0, v247, v198
	v_fmac_f32_e32 v240, v245, v199
	v_fmac_f32_e32 v152, v247, v197
	v_fma_f32 v241, v246, v197, -v0
	ds_read2_b64 v[244:247], v203 offset1:144
	s_waitcnt lgkmcnt(0)
	v_sub_f32_e32 v2, v244, v14
	v_sub_f32_e32 v3, v245, v15
	v_sub_f32_e32 v6, v246, v16
	v_sub_f32_e32 v7, v247, v17
	v_sub_f32_e32 v16, v11, v19
	v_sub_f32_e32 v17, v10, v18
	v_fma_f32 v4, v244, 2.0, -v2
	v_fma_f32 v5, v245, 2.0, -v3
	;; [unrolled: 1-line block ×3, first 2 shown]
	v_sub_f32_e32 v0, v2, v16
	v_add_f32_e32 v1, v3, v17
	v_fma_f32 v15, v247, 2.0, -v7
	ds_read2_b64 v[245:248], v255 offset0:32 offset1:176
	ds_read2_b64 v[249:252], v243 offset0:64 offset1:208
	v_mov_b32_e32 v244, v230
	v_fma_f32 v2, v2, 2.0, -v0
	v_fma_f32 v3, v3, 2.0, -v1
	ds_write_b64 v203, v[0:1] offset:20736
	ds_write_b64 v203, v[2:3] offset:6912
	v_fma_f32 v0, v10, 2.0, -v17
	v_fma_f32 v1, v11, 2.0, -v16
	v_sub_f32_e32 v10, v12, v20
	v_sub_f32_e32 v11, v13, v21
	;; [unrolled: 1-line block ×4, first 2 shown]
	v_fma_f32 v2, v4, 2.0, -v0
	v_fma_f32 v3, v5, 2.0, -v1
	ds_write_b64 v203, v[0:1] offset:13824
	v_fma_f32 v0, v12, 2.0, -v10
	v_fma_f32 v1, v13, 2.0, -v11
	v_add_nc_u32_e32 v12, 0x1e00, v203
	s_waitcnt lgkmcnt(4)
	v_sub_f32_e32 v13, v248, v27
	v_sub_f32_e32 v0, v14, v0
	;; [unrolled: 1-line block ×3, first 2 shown]
	v_mov_b32_e32 v44, v12
	v_fma_f32 v4, v14, 2.0, -v0
	v_fma_f32 v5, v15, 2.0, -v1
	ds_write2_b64 v203, v[2:3], v[4:5] offset1:144
	ds_write_b64 v203, v[0:1] offset:14976
	v_sub_f32_e32 v0, v6, v11
	v_add_f32_e32 v1, v7, v10
	v_sub_f32_e32 v10, v23, v29
	v_sub_f32_e32 v11, v22, v28
	v_fma_f32 v15, v248, 2.0, -v13
	v_fma_f32 v2, v6, 2.0, -v0
	;; [unrolled: 1-line block ×3, first 2 shown]
	v_sub_f32_e32 v6, v245, v24
	v_sub_f32_e32 v7, v246, v25
	ds_write_b64 v203, v[0:1] offset:21888
	v_sub_f32_e32 v0, v6, v10
	v_add_f32_e32 v1, v7, v11
	v_fma_f32 v4, v6, 2.0, -v0
	v_fma_f32 v5, v7, 2.0, -v1
	;; [unrolled: 1-line block ×4, first 2 shown]
	ds_write2_b64 v12, v[2:3], v[4:5] offset0:48 offset1:192
	v_sub_f32_e32 v12, v247, v26
	v_fma_f32 v2, v22, 2.0, -v11
	v_fma_f32 v3, v23, 2.0, -v10
	v_sub_f32_e32 v10, v8, v30
	v_sub_f32_e32 v11, v9, v31
	v_fma_f32 v14, v247, 2.0, -v12
	v_sub_f32_e32 v2, v6, v2
	v_sub_f32_e32 v3, v7, v3
	v_fma_f32 v4, v8, 2.0, -v10
	v_fma_f32 v5, v9, 2.0, -v11
	;; [unrolled: 1-line block ×4, first 2 shown]
	v_sub_f32_e32 v4, v14, v4
	v_sub_f32_e32 v5, v15, v5
	v_fma_f32 v8, v14, 2.0, -v4
	v_fma_f32 v9, v15, 2.0, -v5
	ds_write2_b64 v255, v[6:7], v[8:9] offset0:32 offset1:176
	ds_write2_b64 v218, v[2:3], v[4:5] offset0:96 offset1:240
	v_sub_f32_e32 v2, v12, v11
	v_add_f32_e32 v3, v13, v10
	s_waitcnt lgkmcnt(9)
	v_sub_f32_e32 v6, v249, v36
	v_sub_f32_e32 v7, v250, v37
	;; [unrolled: 1-line block ×4, first 2 shown]
	ds_write2_b64 v216, v[0:1], v[2:3] offset0:64 offset1:208
	v_fma_f32 v0, v12, 2.0, -v2
	v_fma_f32 v1, v13, 2.0, -v3
	v_sub_f32_e32 v2, v6, v8
	v_add_f32_e32 v3, v7, v9
	v_sub_f32_e32 v10, v251, v38
	v_sub_f32_e32 v11, v252, v39
	;; [unrolled: 1-line block ×3, first 2 shown]
	v_fma_f32 v4, v6, 2.0, -v2
	v_fma_f32 v5, v7, 2.0, -v3
	v_sub_f32_e32 v15, v35, v152
	v_fma_f32 v6, v249, 2.0, -v6
	v_fma_f32 v7, v250, 2.0, -v7
	;; [unrolled: 1-line block ×3, first 2 shown]
	ds_write2_b64 v43, v[0:1], v[4:5] offset0:16 offset1:160
	v_fma_f32 v13, v252, 2.0, -v11
	v_fma_f32 v0, v32, 2.0, -v9
	;; [unrolled: 1-line block ×5, first 2 shown]
	v_sub_f32_e32 v0, v6, v0
	v_sub_f32_e32 v1, v7, v1
	;; [unrolled: 1-line block ×4, first 2 shown]
	v_fma_f32 v6, v6, 2.0, -v0
	v_fma_f32 v7, v7, 2.0, -v1
	;; [unrolled: 1-line block ×4, first 2 shown]
	ds_write2_b64 v243, v[6:7], v[8:9] offset0:64 offset1:208
	ds_write2_b64 v204, v[0:1], v[4:5] offset1:144
	v_sub_f32_e32 v0, v10, v15
	v_add_f32_e32 v1, v11, v14
	ds_write2_b64 v219, v[2:3], v[0:1] offset0:96 offset1:240
	v_fma_f32 v0, v10, 2.0, -v0
	v_fma_f32 v1, v11, 2.0, -v1
	ds_write_b64 v203, v[0:1] offset:12672
	s_waitcnt lgkmcnt(0)
	s_barrier
	buffer_gl0_inv
	buffer_load_dword v0, off, s[20:23], 0 offset:84 ; 4-byte Folded Reload
	s_waitcnt vmcnt(0)
	s_clause 0x2
	global_load_dwordx2 v[0:1], v0, s[6:7]
	global_load_dwordx2 v[2:3], v203, s[6:7]
	global_load_dwordx2 v[4:5], v203, s[6:7] offset:1152
	ds_read2_b64 v[245:248], v203 offset1:144
	s_waitcnt vmcnt(1) lgkmcnt(0)
	v_mul_f32_e32 v6, v246, v3
	v_mul_f32_e32 v7, v245, v3
	s_waitcnt vmcnt(0)
	v_mul_f32_e32 v39, v247, v5
	v_fma_f32 v6, v245, v2, -v6
	v_fmac_f32_e32 v7, v246, v2
	v_mul_f32_e32 v2, v248, v5
	v_fmac_f32_e32 v39, v248, v4
	ds_write_b64 v203, v[6:7]
	v_fma_f32 v38, v247, v4, -v2
	v_add_co_u32 v2, s6, s6, v203
	v_add_co_ci_u32_e64 v3, null, s7, 0, s6
	ds_read2_b64 v[245:248], v243 offset0:64 offset1:208
	v_add_co_u32 v4, vcc_lo, 0x1000, v2
	v_add_co_ci_u32_e32 v5, vcc_lo, 0, v3, vcc_lo
	s_mul_hi_u32 s6, s0, 0xffffaa80
	s_sub_i32 s6, s6, s0
	s_clause 0x1
	global_load_dwordx2 v[6:7], v[4:5], off offset:512
	global_load_dwordx2 v[4:5], v[4:5], off offset:1664
	s_waitcnt vmcnt(1) lgkmcnt(0)
	v_mul_f32_e32 v8, v246, v7
	v_mul_f32_e32 v37, v245, v7
	v_fma_f32 v36, v245, v6, -v8
	v_fmac_f32_e32 v37, v246, v6
	v_add_co_u32 v6, vcc_lo, 0x2000, v2
	v_add_co_ci_u32_e32 v7, vcc_lo, 0, v3, vcc_lo
	v_add_co_u32 v10, vcc_lo, 0x3000, v2
	v_add_co_ci_u32_e32 v11, vcc_lo, 0, v3, vcc_lo
	s_clause 0x1
	global_load_dwordx2 v[6:7], v[6:7], off offset:1024
	global_load_dwordx2 v[12:13], v[10:11], off offset:384
	s_waitcnt vmcnt(2)
	v_mul_f32_e32 v8, v248, v5
	v_mul_f32_e32 v15, v247, v5
	v_fma_f32 v14, v247, v4, -v8
	v_fmac_f32_e32 v15, v248, v4
	ds_read2_b64 v[245:248], v215 offset1:144
	s_waitcnt vmcnt(1) lgkmcnt(0)
	v_mul_f32_e32 v4, v246, v7
	v_mul_f32_e32 v9, v245, v7
	v_fma_f32 v8, v245, v6, -v4
	v_fmac_f32_e32 v9, v246, v6
	v_add_co_u32 v6, vcc_lo, 0x2800, v2
	v_add_co_ci_u32_e32 v7, vcc_lo, 0, v3, vcc_lo
	v_add_co_u32 v16, vcc_lo, 0x5800, v2
	v_add_co_ci_u32_e32 v17, vcc_lo, 0, v3, vcc_lo
	s_clause 0x3
	global_load_dwordx2 v[18:19], v[6:7], off offset:128
	global_load_dwordx2 v[6:7], v[6:7], off offset:1280
	;; [unrolled: 1-line block ×4, first 2 shown]
	s_waitcnt vmcnt(3)
	v_mul_f32_e32 v4, v248, v19
	v_mul_f32_e32 v23, v247, v19
	v_fma_f32 v22, v247, v18, -v4
	v_fmac_f32_e32 v23, v248, v18
	ds_read2_b64 v[245:248], v230 offset0:64 offset1:208
	v_mov_b32_e32 v230, v216
	s_waitcnt vmcnt(0) lgkmcnt(0)
	v_mul_f32_e32 v4, v246, v11
	v_mul_f32_e32 v19, v245, v11
	v_fma_f32 v18, v245, v10, -v4
	v_fmac_f32_e32 v19, v246, v10
	v_add_co_u32 v10, vcc_lo, 0x3800, v2
	v_add_co_ci_u32_e32 v11, vcc_lo, 0, v3, vcc_lo
	v_add_co_u32 v24, vcc_lo, 0x800, v2
	v_add_co_ci_u32_e32 v25, vcc_lo, 0, v3, vcc_lo
	s_clause 0x3
	global_load_dwordx2 v[26:27], v[10:11], off offset:640
	global_load_dwordx2 v[28:29], v[24:25], off offset:256
	;; [unrolled: 1-line block ×4, first 2 shown]
	s_waitcnt vmcnt(3)
	v_mul_f32_e32 v4, v248, v27
	v_mul_f32_e32 v31, v247, v27
	v_fma_f32 v30, v247, v26, -v4
	v_fmac_f32_e32 v31, v248, v26
	ds_read2_b64 v[245:248], v204 offset1:144
	s_waitcnt lgkmcnt(0)
	v_mul_f32_e32 v4, v246, v1
	v_mul_f32_e32 v27, v245, v1
	v_fma_f32 v26, v245, v0, -v4
	v_fmac_f32_e32 v27, v246, v0
	v_add_co_u32 v0, vcc_lo, 0x4800, v2
	v_add_co_ci_u32_e32 v1, vcc_lo, 0, v3, vcc_lo
	global_load_dwordx2 v[0:1], v[0:1], off offset:1152
	s_waitcnt vmcnt(0)
	v_mul_f32_e32 v4, v248, v1
	v_mul_f32_e32 v33, v247, v1
	v_fma_f32 v32, v247, v0, -v4
	v_fmac_f32_e32 v33, v248, v0
	global_load_dwordx2 v[0:1], v[16:17], off offset:512
	ds_read2_b64 v[245:248], v216 offset0:64 offset1:208
	s_waitcnt lgkmcnt(0)
	v_mul_f32_e32 v5, v247, v21
	v_fmac_f32_e32 v5, v248, v20
	s_waitcnt vmcnt(0)
	v_mul_f32_e32 v4, v246, v1
	v_mul_f32_e32 v17, v245, v1
	v_fma_f32 v16, v245, v0, -v4
	v_fmac_f32_e32 v17, v246, v0
	v_mul_f32_e32 v0, v248, v21
	v_fma_f32 v4, v247, v20, -v0
	ds_read2_b64 v[245:248], v255 offset0:32 offset1:176
	s_waitcnt lgkmcnt(0)
	v_mul_f32_e32 v0, v246, v29
	v_mul_f32_e32 v21, v245, v29
	;; [unrolled: 1-line block ×3, first 2 shown]
	v_fma_f32 v20, v245, v28, -v0
	v_fmac_f32_e32 v21, v246, v28
	v_add_co_u32 v28, vcc_lo, 0x1800, v2
	v_add_co_ci_u32_e32 v29, vcc_lo, 0, v3, vcc_lo
	s_clause 0x1
	global_load_dwordx2 v[34:35], v[28:29], off offset:768
	global_load_dwordx2 v[28:29], v[28:29], off offset:1920
	v_mul_f32_e32 v0, v248, v25
	v_fmac_f32_e32 v252, v248, v24
	v_add_co_u32 v240, vcc_lo, 0x5000, v2
	v_add_co_ci_u32_e32 v241, vcc_lo, 0, v3, vcc_lo
	v_fma_f32 v251, v247, v24, -v0
	ds_read2_b64 v[245:248], v239 offset0:96 offset1:240
	global_load_dwordx2 v[249:250], v[240:241], off offset:256
	s_waitcnt vmcnt(2) lgkmcnt(0)
	v_mul_f32_e32 v0, v246, v35
	v_mul_f32_e32 v25, v245, v35
	s_waitcnt vmcnt(1)
	v_mul_f32_e32 v35, v247, v29
	v_fma_f32 v24, v245, v34, -v0
	v_mul_f32_e32 v0, v248, v29
	v_fmac_f32_e32 v25, v246, v34
	v_fmac_f32_e32 v35, v248, v28
	v_fma_f32 v34, v247, v28, -v0
	ds_read2_b64 v[245:248], v242 offset0:32 offset1:176
	s_waitcnt lgkmcnt(0)
	v_mul_f32_e32 v0, v246, v7
	v_mul_f32_e32 v29, v245, v7
	;; [unrolled: 1-line block ×3, first 2 shown]
	v_fma_f32 v28, v245, v6, -v0
	v_mul_f32_e32 v0, v248, v13
	v_fmac_f32_e32 v29, v246, v6
	v_fmac_f32_e32 v7, v248, v12
	v_fma_f32 v6, v247, v12, -v0
	ds_read2_b64 v[245:248], v218 offset0:96 offset1:240
	s_waitcnt lgkmcnt(0)
	v_mul_f32_e32 v0, v246, v11
	v_mul_f32_e32 v13, v245, v11
	v_fma_f32 v12, v245, v10, -v0
	v_fmac_f32_e32 v13, v246, v10
	v_add_co_u32 v10, vcc_lo, 0x4000, v2
	v_add_co_ci_u32_e32 v11, vcc_lo, 0, v3, vcc_lo
	v_add_co_u32 v216, vcc_lo, 0x6000, v2
	v_add_co_ci_u32_e32 v217, vcc_lo, 0, v3, vcc_lo
	s_clause 0x1
	global_load_dwordx2 v[10:11], v[10:11], off offset:896
	global_load_dwordx2 v[0:1], v[216:217], off offset:1920
	s_waitcnt vmcnt(1)
	v_mul_f32_e32 v2, v248, v11
	v_mul_f32_e32 v3, v247, v11
	v_fma_f32 v2, v247, v10, -v2
	v_fmac_f32_e32 v3, v248, v10
	ds_read2_b64 v[245:248], v45 offset0:32 offset1:176
	s_clause 0x1
	global_load_dwordx2 v[240:241], v[240:241], off offset:1408
	global_load_dwordx2 v[216:217], v[216:217], off offset:768
	s_waitcnt lgkmcnt(0)
	v_mul_f32_e32 v10, v246, v250
	v_mul_f32_e32 v11, v245, v250
	v_fma_f32 v10, v245, v249, -v10
	v_fmac_f32_e32 v11, v246, v249
	s_waitcnt vmcnt(1)
	v_mul_f32_e32 v152, v248, v241
	v_mul_f32_e32 v250, v247, v241
	v_fma_f32 v249, v247, v240, -v152
	v_fmac_f32_e32 v250, v248, v240
	ds_read2_b64 v[245:248], v219 offset0:96 offset1:240
	s_waitcnt vmcnt(0) lgkmcnt(0)
	v_mul_f32_e32 v152, v246, v217
	v_mul_f32_e32 v241, v245, v217
	;; [unrolled: 1-line block ×3, first 2 shown]
	v_fma_f32 v240, v245, v216, -v152
	v_mul_f32_e32 v152, v248, v1
	v_fmac_f32_e32 v241, v246, v216
	v_fmac_f32_e32 v217, v248, v0
	v_fma_f32 v216, v247, v0, -v152
	v_add_nc_u32_e32 v0, 0x400, v203
	ds_write2_b64 v0, v[38:39], v[20:21] offset0:16 offset1:160
	v_add_nc_u32_e32 v0, 0x1400, v203
	ds_write2_b64 v0, v[14:15], v[24:25] offset0:80 offset1:224
	;; [unrolled: 2-line block ×9, first 2 shown]
	ds_write2_b64 v43, v[22:23], v[28:29] offset0:16 offset1:160
	ds_write2_b64 v44, v[34:35], v[8:9] offset0:48 offset1:192
	ds_write_b64 v203, v[216:217] offset:26496
	s_waitcnt lgkmcnt(0)
	s_barrier
	buffer_gl0_inv
	ds_read2_b64 v[216:219], v244 offset0:64 offset1:208
	ds_read2_b64 v[245:248], v230 offset0:64 offset1:208
	;; [unrolled: 1-line block ×3, first 2 shown]
	s_waitcnt lgkmcnt(1)
	v_add_f32_e32 v0, v216, v245
	v_sub_f32_e32 v48, v216, v245
	v_sub_f32_e32 v44, v217, v246
	s_waitcnt lgkmcnt(0)
	v_fma_f32 v36, -0.5, v0, v249
	v_add_f32_e32 v0, v217, v246
	v_fma_f32 v37, -0.5, v0, v250
	v_fmamk_f32 v0, v48, 0x3f5db3d7, v37
	v_fmac_f32_e32 v37, 0xbf5db3d7, v48
	v_mul_f32_e32 v39, 0xbf5db3d7, v0
	v_mul_f32_e32 v152, 0.5, v0
	v_fmamk_f32 v0, v44, 0xbf5db3d7, v36
	v_fmac_f32_e32 v36, 0x3f5db3d7, v44
	v_fmac_f32_e32 v39, 0.5, v0
	v_fmac_f32_e32 v152, 0x3f5db3d7, v0
	ds_read2_b64 v[239:242], v203 offset1:144
	ds_read2_b64 v[0:3], v215 offset1:144
	;; [unrolled: 1-line block ×3, first 2 shown]
	s_waitcnt lgkmcnt(1)
	v_add_f32_e32 v8, v239, v0
	s_waitcnt lgkmcnt(0)
	v_add_f32_e32 v43, v8, v4
	v_add_f32_e32 v8, v0, v4
	v_sub_f32_e32 v0, v0, v4
	v_fma_f32 v239, -0.5, v8, v239
	v_add_f32_e32 v8, v240, v1
	v_add_f32_e32 v38, v8, v5
	;; [unrolled: 1-line block ×3, first 2 shown]
	v_mov_b32_e32 v249, v47
	v_add_f32_e32 v42, v8, v245
	v_add_f32_e32 v8, v250, v217
	v_mov_b32_e32 v250, v41
	v_mov_b32_e32 v245, v45
	v_add_f32_e32 v32, v43, v42
	v_add_f32_e32 v216, v8, v246
	;; [unrolled: 1-line block ×3, first 2 shown]
	v_sub_f32_e32 v1, v1, v5
	v_mov_b32_e32 v246, v46
	v_add_f32_e32 v33, v38, v216
	v_fma_f32 v217, -0.5, v8, v240
	ds_read2_b64 v[12:15], v255 offset0:32 offset1:176
	ds_read2_b64 v[8:11], v41 offset0:96 offset1:240
	;; [unrolled: 1-line block ×6, first 2 shown]
	v_mov_b32_e32 v240, v40
	s_waitcnt lgkmcnt(0)
	s_barrier
	buffer_gl0_inv
	buffer_load_dword v40, off, s[20:23], 0 offset:104 ; 4-byte Folded Reload
	v_fmamk_f32 v5, v1, 0xbf5db3d7, v239
	v_fmamk_f32 v4, v0, 0x3f5db3d7, v217
	v_fmac_f32_e32 v239, 0x3f5db3d7, v1
	v_fmac_f32_e32 v217, 0xbf5db3d7, v0
	v_mul_f32_e32 v0, 0xbf5db3d7, v37
	v_add_f32_e32 v34, v5, v39
	v_add_f32_e32 v35, v4, v152
	v_mul_f32_e32 v1, -0.5, v37
	v_fmac_f32_e32 v0, -0.5, v36
	v_fmac_f32_e32 v1, 0x3f5db3d7, v36
	s_waitcnt vmcnt(0)
	ds_write_b128 v40, v[32:35]
	v_sub_f32_e32 v34, v43, v42
	buffer_load_dword v43, off, s[20:23], 0 offset:100 ; 4-byte Folded Reload
	v_sub_f32_e32 v35, v38, v216
	v_add_f32_e32 v32, v239, v0
	v_add_f32_e32 v33, v217, v1
	ds_write_b128 v40, v[32:35] offset:16
	v_sub_f32_e32 v32, v5, v39
	v_sub_f32_e32 v34, v239, v0
	;; [unrolled: 1-line block ×4, first 2 shown]
	v_add_f32_e32 v0, v241, v2
	v_add_f32_e32 v4, v242, v3
	;; [unrolled: 1-line block ×3, first 2 shown]
	v_sub_f32_e32 v5, v3, v7
	ds_write_b128 v40, v[32:35] offset:32
	v_add_f32_e32 v33, v219, v248
	v_add_f32_e32 v3, v3, v7
	v_sub_f32_e32 v32, v2, v6
	v_add_f32_e32 v6, v0, v6
	v_add_f32_e32 v4, v4, v7
	v_add_f32_e32 v0, v251, v218
	v_add_f32_e32 v2, v218, v247
	v_add_f32_e32 v7, v252, v219
	v_sub_f32_e32 v35, v218, v247
	v_fmac_f32_e32 v252, -0.5, v33
	v_sub_f32_e32 v34, v219, v248
	v_add_f32_e32 v36, v0, v247
	v_fma_f32 v33, -0.5, v2, v251
	v_fmac_f32_e32 v242, -0.5, v3
	v_fmamk_f32 v0, v35, 0x3f5db3d7, v252
	v_fma_f32 v39, -0.5, v1, v241
	v_fmac_f32_e32 v252, 0xbf5db3d7, v35
	v_add_f32_e32 v7, v7, v248
	v_fmamk_f32 v41, v32, 0x3f5db3d7, v242
	v_mul_f32_e32 v37, 0xbf5db3d7, v0
	v_mul_f32_e32 v38, 0.5, v0
	v_fmamk_f32 v0, v34, 0xbf5db3d7, v33
	v_fmamk_f32 v40, v5, 0xbf5db3d7, v39
	v_mul_f32_e32 v35, 0xbf5db3d7, v252
	v_mul_f32_e32 v42, -0.5, v252
	v_fmac_f32_e32 v33, 0x3f5db3d7, v34
	v_fmac_f32_e32 v37, 0.5, v0
	v_fmac_f32_e32 v38, 0x3f5db3d7, v0
	v_add_f32_e32 v0, v6, v36
	v_add_f32_e32 v1, v4, v7
	v_fmac_f32_e32 v39, 0x3f5db3d7, v5
	v_add_f32_e32 v2, v40, v37
	v_add_f32_e32 v3, v41, v38
	v_fmac_f32_e32 v242, 0xbf5db3d7, v32
	v_fmac_f32_e32 v35, -0.5, v33
	v_fmac_f32_e32 v42, 0x3f5db3d7, v33
	v_sub_f32_e32 v33, v25, v29
	s_waitcnt vmcnt(0)
	ds_write_b128 v43, v[0:3]
	v_sub_f32_e32 v2, v6, v36
	v_sub_f32_e32 v3, v4, v7
	v_add_f32_e32 v0, v39, v35
	v_add_f32_e32 v1, v242, v42
	v_sub_f32_e32 v6, v24, v28
	ds_write_b128 v43, v[0:3] offset:16
	v_sub_f32_e32 v3, v242, v42
	v_sub_f32_e32 v0, v40, v37
	;; [unrolled: 1-line block ×4, first 2 shown]
	ds_write_b128 v43, v[0:3] offset:32
	v_add_f32_e32 v0, v24, v28
	v_fma_f32 v4, -0.5, v0, v8
	v_add_f32_e32 v0, v25, v29
	v_fma_f32 v5, -0.5, v0, v9
	v_fmamk_f32 v0, v6, 0x3f5db3d7, v5
	v_fmac_f32_e32 v5, 0xbf5db3d7, v6
	v_mul_f32_e32 v7, 0xbf5db3d7, v0
	v_mul_f32_e32 v32, 0.5, v0
	v_fmamk_f32 v0, v33, 0xbf5db3d7, v4
	v_fmac_f32_e32 v4, 0x3f5db3d7, v33
	v_mul_f32_e32 v6, 0xbf5db3d7, v5
	v_mul_f32_e32 v5, -0.5, v5
	v_fmac_f32_e32 v7, 0.5, v0
	v_fmac_f32_e32 v32, 0x3f5db3d7, v0
	v_add_f32_e32 v0, v12, v16
	v_fmac_f32_e32 v6, -0.5, v4
	v_fmac_f32_e32 v5, 0x3f5db3d7, v4
	v_sub_f32_e32 v4, v19, v23
	v_add_f32_e32 v34, v0, v20
	v_add_f32_e32 v0, v16, v20
	v_sub_f32_e32 v16, v16, v20
	v_fma_f32 v12, -0.5, v0, v12
	v_add_f32_e32 v0, v13, v17
	v_add_f32_e32 v35, v0, v21
	;; [unrolled: 1-line block ×3, first 2 shown]
	buffer_load_dword v24, off, s[20:23], 0 offset:96 ; 4-byte Folded Reload
	v_add_f32_e32 v8, v0, v28
	v_add_f32_e32 v0, v9, v25
	v_add_f32_e32 v9, v0, v29
	v_add_f32_e32 v0, v17, v21
	v_sub_f32_e32 v17, v17, v21
	v_add_f32_e32 v1, v35, v9
	v_fma_f32 v13, -0.5, v0, v13
	v_fmamk_f32 v21, v17, 0xbf5db3d7, v12
	v_add_f32_e32 v0, v34, v8
	v_fmac_f32_e32 v12, 0x3f5db3d7, v17
	v_fmamk_f32 v20, v16, 0x3f5db3d7, v13
	v_add_f32_e32 v2, v21, v7
	v_fmac_f32_e32 v13, 0xbf5db3d7, v16
	v_add_f32_e32 v3, v20, v32
	s_waitcnt vmcnt(0)
	ds_write_b128 v24, v[0:3]
	v_sub_f32_e32 v2, v34, v8
	v_sub_f32_e32 v3, v35, v9
	v_add_f32_e32 v0, v12, v6
	v_add_f32_e32 v1, v13, v5
	;; [unrolled: 1-line block ×4, first 2 shown]
	ds_write_b128 v24, v[0:3] offset:16
	v_sub_f32_e32 v1, v20, v32
	buffer_load_dword v20, off, s[20:23], 0 offset:92 ; 4-byte Folded Reload
	v_sub_f32_e32 v0, v21, v7
	v_sub_f32_e32 v2, v12, v6
	;; [unrolled: 1-line block ×4, first 2 shown]
	v_fmac_f32_e32 v11, -0.5, v9
	v_sub_f32_e32 v12, v27, v31
	v_sub_f32_e32 v5, v18, v22
	ds_write_b128 v24, v[0:3] offset:32
	v_add_f32_e32 v0, v14, v18
	v_add_f32_e32 v2, v15, v19
	;; [unrolled: 1-line block ×9, first 2 shown]
	v_fmac_f32_e32 v15, -0.5, v3
	v_fma_f32 v14, -0.5, v1, v14
	v_add_f32_e32 v1, v7, v8
	v_add_f32_e32 v16, v0, v30
	v_fma_f32 v9, -0.5, v2, v10
	v_fmamk_f32 v0, v13, 0x3f5db3d7, v11
	v_fmac_f32_e32 v11, 0xbf5db3d7, v13
	v_fmamk_f32 v18, v4, 0xbf5db3d7, v14
	v_fmamk_f32 v19, v5, 0x3f5db3d7, v15
	v_fmac_f32_e32 v14, 0x3f5db3d7, v4
	v_mul_f32_e32 v10, 0xbf5db3d7, v0
	v_mul_f32_e32 v17, 0.5, v0
	v_fmamk_f32 v0, v12, 0xbf5db3d7, v9
	v_mul_f32_e32 v13, 0xbf5db3d7, v11
	v_mul_f32_e32 v11, -0.5, v11
	v_fmac_f32_e32 v9, 0x3f5db3d7, v12
	v_fmac_f32_e32 v15, 0xbf5db3d7, v5
	v_fmac_f32_e32 v10, 0.5, v0
	v_fmac_f32_e32 v17, 0x3f5db3d7, v0
	v_add_f32_e32 v0, v6, v16
	v_fmac_f32_e32 v13, -0.5, v9
	v_fmac_f32_e32 v11, 0x3f5db3d7, v9
	v_add_f32_e32 v2, v18, v10
	v_add_f32_e32 v3, v19, v17
	s_waitcnt vmcnt(0)
	ds_write_b128 v20, v[0:3]
	v_sub_f32_e32 v2, v6, v16
	v_sub_f32_e32 v3, v7, v8
	v_add_f32_e32 v0, v14, v13
	v_add_f32_e32 v1, v15, v11
	ds_write_b128 v20, v[0:3] offset:16
	v_sub_f32_e32 v3, v15, v11
	v_sub_f32_e32 v0, v18, v10
	;; [unrolled: 1-line block ×4, first 2 shown]
	ds_write_b128 v20, v[0:3] offset:32
	s_waitcnt lgkmcnt(0)
	s_barrier
	buffer_gl0_inv
	ds_read2_b64 v[0:3], v243 offset0:64 offset1:208
	ds_read2_b64 v[4:7], v215 offset1:144
	s_waitcnt lgkmcnt(1)
	v_mul_f32_e32 v10, v141, v1
	v_mul_f32_e32 v12, v154, v3
	s_waitcnt lgkmcnt(0)
	v_mul_f32_e32 v8, v143, v5
	v_mul_f32_e32 v14, v156, v7
	v_fmac_f32_e32 v10, v140, v0
	v_mul_f32_e32 v0, v141, v0
	v_fmac_f32_e32 v12, v153, v2
	v_fmac_f32_e32 v8, v142, v4
	;; [unrolled: 1-line block ×3, first 2 shown]
	v_fma_f32 v11, v140, v1, -v0
	v_mul_f32_e32 v0, v143, v4
	v_fma_f32 v9, v142, v5, -v0
	v_mul_f32_e32 v0, v154, v2
	;; [unrolled: 2-line block ×3, first 2 shown]
	v_fma_f32 v15, v155, v7, -v0
	ds_read2_b64 v[0:3], v244 offset0:64 offset1:208
	ds_read2_b64 v[4:7], v204 offset1:144
	s_waitcnt lgkmcnt(1)
	v_mul_f32_e32 v16, v158, v1
	v_mul_f32_e32 v20, v145, v3
	s_waitcnt lgkmcnt(0)
	v_mul_f32_e32 v18, v160, v5
	v_mul_f32_e32 v22, v147, v7
	v_fmac_f32_e32 v16, v157, v0
	v_mul_f32_e32 v0, v158, v0
	v_fmac_f32_e32 v20, v144, v2
	v_fmac_f32_e32 v18, v159, v4
	;; [unrolled: 1-line block ×3, first 2 shown]
	v_fma_f32 v17, v157, v1, -v0
	v_mul_f32_e32 v0, v160, v4
	v_fma_f32 v19, v159, v5, -v0
	v_mul_f32_e32 v0, v145, v2
	;; [unrolled: 2-line block ×3, first 2 shown]
	v_fma_f32 v23, v146, v7, -v0
	ds_read2_b64 v[0:3], v250 offset0:96 offset1:240
	ds_read2_b64 v[4:7], v46 offset0:32 offset1:176
	s_waitcnt lgkmcnt(1)
	v_mul_f32_e32 v24, v117, v1
	v_mul_f32_e32 v28, v125, v3
	s_waitcnt lgkmcnt(0)
	v_mul_f32_e32 v26, v119, v5
	v_mul_f32_e32 v30, v127, v7
	v_fmac_f32_e32 v24, v116, v0
	v_mul_f32_e32 v0, v117, v0
	v_fmac_f32_e32 v28, v124, v2
	v_fmac_f32_e32 v26, v118, v4
	;; [unrolled: 1-line block ×3, first 2 shown]
	v_fma_f32 v25, v116, v1, -v0
	v_mul_f32_e32 v0, v119, v4
	v_sub_f32_e32 v119, v9, v19
	v_fma_f32 v27, v118, v5, -v0
	v_mul_f32_e32 v0, v125, v2
	v_sub_f32_e32 v118, v8, v18
	v_fma_f32 v29, v124, v3, -v0
	v_mul_f32_e32 v0, v127, v6
	v_fma_f32 v31, v126, v7, -v0
	ds_read2_b64 v[0:3], v47 offset0:96 offset1:240
	ds_read2_b64 v[4:7], v45 offset0:32 offset1:176
	s_waitcnt lgkmcnt(1)
	v_mul_f32_e32 v32, v137, v1
	v_mul_f32_e32 v36, v121, v3
	s_waitcnt lgkmcnt(0)
	v_mul_f32_e32 v34, v139, v5
	v_mul_f32_e32 v38, v123, v7
	v_fmac_f32_e32 v32, v136, v0
	v_mul_f32_e32 v0, v137, v0
	v_fmac_f32_e32 v36, v120, v2
	v_fmac_f32_e32 v34, v138, v4
	v_fmac_f32_e32 v38, v122, v6
	v_fma_f32 v33, v136, v1, -v0
	v_mul_f32_e32 v0, v139, v4
	v_fma_f32 v35, v138, v5, -v0
	v_mul_f32_e32 v0, v121, v2
	;; [unrolled: 2-line block ×3, first 2 shown]
	v_fma_f32 v39, v122, v7, -v0
	ds_read2_b64 v[0:3], v230 offset0:64 offset1:208
	v_add_f32_e32 v7, v8, v18
	s_waitcnt lgkmcnt(0)
	v_mul_f32_e32 v4, v202, v1
	v_mul_f32_e32 v40, v206, v3
	v_fmac_f32_e32 v4, v201, v0
	v_mul_f32_e32 v0, v202, v0
	v_fmac_f32_e32 v40, v205, v2
	v_add_f32_e32 v120, v16, v4
	v_fma_f32 v5, v201, v1, -v0
	v_mul_f32_e32 v0, v206, v2
	v_fma_f32 v41, v205, v3, -v0
	ds_read2_b64 v[0:3], v240 offset0:96 offset1:240
	s_waitcnt lgkmcnt(0)
	v_mul_f32_e32 v42, v166, v1
	v_mul_f32_e32 v116, v168, v3
	v_fmac_f32_e32 v42, v165, v0
	v_mul_f32_e32 v0, v166, v0
	v_fmac_f32_e32 v116, v167, v2
	v_fma_f32 v43, v165, v1, -v0
	v_mul_f32_e32 v0, v168, v2
	v_fma_f32 v117, v167, v3, -v0
	ds_read2_b64 v[0:3], v203 offset1:144
	s_waitcnt lgkmcnt(0)
	v_add_f32_e32 v6, v0, v8
	v_add_f32_e32 v8, v9, v19
	v_fma_f32 v124, -0.5, v7, v0
	v_add_f32_e32 v18, v6, v18
	v_add_f32_e32 v6, v1, v9
	;; [unrolled: 1-line block ×3, first 2 shown]
	v_fma_f32 v125, -0.5, v8, v1
	v_fmamk_f32 v126, v119, 0xbf5db3d7, v124
	v_fmac_f32_e32 v124, 0x3f5db3d7, v119
	v_add_f32_e32 v19, v6, v19
	v_add_f32_e32 v6, v17, v5
	v_sub_f32_e32 v17, v17, v5
	v_fmamk_f32 v127, v118, 0x3f5db3d7, v125
	v_fmac_f32_e32 v125, 0xbf5db3d7, v118
	v_fmac_f32_e32 v11, -0.5, v6
	v_add_f32_e32 v6, v10, v16
	v_sub_f32_e32 v16, v16, v4
	v_fmac_f32_e32 v10, -0.5, v120
	v_add_f32_e32 v120, v9, v5
	v_add_f32_e32 v121, v6, v4
	v_fmamk_f32 v4, v16, 0x3f5db3d7, v11
	v_fmac_f32_e32 v11, 0xbf5db3d7, v16
	v_add_f32_e32 v1, v19, v120
	v_add_f32_e32 v0, v18, v121
	v_mul_f32_e32 v122, 0xbf5db3d7, v4
	v_mul_f32_e32 v123, 0.5, v4
	v_fmamk_f32 v4, v17, 0xbf5db3d7, v10
	v_fmac_f32_e32 v10, 0x3f5db3d7, v17
	v_mul_f32_e32 v16, 0xbf5db3d7, v11
	v_mul_f32_e32 v11, -0.5, v11
	v_fmac_f32_e32 v122, 0.5, v4
	v_fmac_f32_e32 v123, 0x3f5db3d7, v4
	ds_read2_b64 v[4:7], v255 offset0:32 offset1:176
	s_waitcnt lgkmcnt(0)
	s_barrier
	buffer_gl0_inv
	buffer_load_dword v44, off, s[20:23], 0 offset:128 ; 4-byte Folded Reload
	v_add_f32_e32 v8, v126, v122
	v_add_f32_e32 v9, v127, v123
	v_fmac_f32_e32 v16, -0.5, v10
	v_fmac_f32_e32 v11, 0x3f5db3d7, v10
	v_sub_f32_e32 v10, v14, v22
	s_waitcnt vmcnt(0)
	ds_write2_b64 v44, v[0:1], v[8:9] offset1:6
	v_sub_f32_e32 v0, v18, v121
	v_sub_f32_e32 v1, v19, v120
	v_add_f32_e32 v8, v124, v16
	v_add_f32_e32 v9, v125, v11
	v_sub_f32_e32 v18, v21, v41
	ds_write2_b64 v44, v[8:9], v[0:1] offset0:12 offset1:18
	v_sub_f32_e32 v0, v126, v122
	v_sub_f32_e32 v1, v127, v123
	v_sub_f32_e32 v8, v124, v16
	v_sub_f32_e32 v9, v125, v11
	v_sub_f32_e32 v16, v20, v40
	ds_write2_b64 v44, v[0:1], v[8:9] offset0:24 offset1:30
	v_add_f32_e32 v0, v2, v14
	v_add_f32_e32 v1, v14, v22
	;; [unrolled: 1-line block ×3, first 2 shown]
	v_sub_f32_e32 v14, v15, v23
	v_add_f32_e32 v9, v20, v40
	v_add_f32_e32 v11, v0, v22
	;; [unrolled: 1-line block ×3, first 2 shown]
	v_fmac_f32_e32 v3, -0.5, v8
	v_add_f32_e32 v8, v13, v21
	v_fma_f32 v2, -0.5, v1, v2
	v_add_f32_e32 v15, v0, v23
	v_add_f32_e32 v0, v21, v41
	;; [unrolled: 1-line block ×3, first 2 shown]
	v_fmamk_f32 v22, v14, 0xbf5db3d7, v2
	v_fmamk_f32 v23, v10, 0x3f5db3d7, v3
	v_fmac_f32_e32 v3, 0xbf5db3d7, v10
	v_fmac_f32_e32 v13, -0.5, v0
	v_add_f32_e32 v0, v12, v20
	v_fmac_f32_e32 v12, -0.5, v9
	v_add_f32_e32 v1, v15, v19
	v_fmac_f32_e32 v2, 0x3f5db3d7, v14
	v_add_f32_e32 v17, v0, v40
	buffer_load_dword v40, off, s[20:23], 0 offset:124 ; 4-byte Folded Reload
	v_fmamk_f32 v0, v16, 0x3f5db3d7, v13
	v_fmac_f32_e32 v13, 0xbf5db3d7, v16
	v_mul_f32_e32 v20, 0xbf5db3d7, v0
	v_mul_f32_e32 v21, 0.5, v0
	v_fmamk_f32 v0, v18, 0xbf5db3d7, v12
	v_fmac_f32_e32 v12, 0x3f5db3d7, v18
	v_mul_f32_e32 v10, 0xbf5db3d7, v13
	v_fmac_f32_e32 v20, 0.5, v0
	v_fmac_f32_e32 v21, 0x3f5db3d7, v0
	v_add_f32_e32 v0, v11, v17
	v_fmac_f32_e32 v10, -0.5, v12
	v_add_f32_e32 v8, v22, v20
	v_add_f32_e32 v9, v23, v21
	s_waitcnt vmcnt(0)
	ds_write2_b64 v40, v[0:1], v[8:9] offset1:6
	v_sub_f32_e32 v0, v11, v17
	v_mul_f32_e32 v11, -0.5, v13
	v_sub_f32_e32 v1, v15, v19
	v_add_f32_e32 v8, v2, v10
	v_sub_f32_e32 v13, v32, v42
	v_fmac_f32_e32 v11, 0x3f5db3d7, v12
	v_add_f32_e32 v12, v32, v42
	v_add_f32_e32 v9, v3, v11
	ds_write2_b64 v40, v[8:9], v[0:1] offset0:12 offset1:18
	v_sub_f32_e32 v0, v2, v10
	v_sub_f32_e32 v2, v22, v20
	buffer_load_dword v20, off, s[20:23], 0 offset:120 ; 4-byte Folded Reload
	v_sub_f32_e32 v1, v3, v11
	v_sub_f32_e32 v3, v23, v21
	;; [unrolled: 1-line block ×4, first 2 shown]
	ds_write2_b64 v40, v[2:3], v[0:1] offset0:24 offset1:30
	v_add_f32_e32 v2, v33, v43
	v_add_f32_e32 v0, v5, v27
	;; [unrolled: 1-line block ×4, first 2 shown]
	v_fmac_f32_e32 v25, -0.5, v2
	v_add_f32_e32 v2, v24, v32
	v_add_f32_e32 v8, v0, v35
	;; [unrolled: 1-line block ×6, first 2 shown]
	v_fmac_f32_e32 v24, -0.5, v12
	v_sub_f32_e32 v12, v33, v43
	v_fmamk_f32 v2, v13, 0x3f5db3d7, v25
	v_fma_f32 v4, -0.5, v1, v4
	v_fma_f32 v5, -0.5, v0, v5
	v_add_f32_e32 v15, v3, v43
	v_add_f32_e32 v0, v10, v14
	v_mul_f32_e32 v16, 0xbf5db3d7, v2
	v_mul_f32_e32 v17, 0.5, v2
	v_fmamk_f32 v2, v12, 0xbf5db3d7, v24
	v_fmamk_f32 v18, v9, 0xbf5db3d7, v4
	;; [unrolled: 1-line block ×3, first 2 shown]
	v_add_f32_e32 v1, v8, v15
	v_fmac_f32_e32 v25, 0xbf5db3d7, v13
	v_fmac_f32_e32 v16, 0.5, v2
	v_fmac_f32_e32 v17, 0x3f5db3d7, v2
	v_fmac_f32_e32 v4, 0x3f5db3d7, v9
	;; [unrolled: 1-line block ×3, first 2 shown]
	v_mul_f32_e32 v9, -0.5, v25
	v_add_f32_e32 v2, v18, v16
	v_add_f32_e32 v3, v19, v17
	v_fmac_f32_e32 v5, 0xbf5db3d7, v11
	v_sub_f32_e32 v12, v37, v117
	v_fmac_f32_e32 v9, 0x3f5db3d7, v24
	s_waitcnt vmcnt(0)
	ds_write2_b64 v20, v[0:1], v[2:3] offset1:6
	v_sub_f32_e32 v1, v8, v15
	v_mul_f32_e32 v8, 0xbf5db3d7, v25
	v_sub_f32_e32 v0, v10, v14
	v_add_f32_e32 v3, v5, v9
	v_sub_f32_e32 v10, v36, v116
	v_fmac_f32_e32 v8, -0.5, v24
	v_add_f32_e32 v2, v4, v8
	ds_write2_b64 v20, v[2:3], v[0:1] offset0:12 offset1:18
	v_sub_f32_e32 v0, v18, v16
	buffer_load_dword v18, off, s[20:23], 0 offset:116 ; 4-byte Folded Reload
	v_sub_f32_e32 v1, v19, v17
	v_sub_f32_e32 v2, v4, v8
	;; [unrolled: 1-line block ×5, first 2 shown]
	ds_write2_b64 v20, v[0:1], v[2:3] offset0:24 offset1:30
	v_add_f32_e32 v1, v31, v39
	v_add_f32_e32 v0, v7, v31
	;; [unrolled: 1-line block ×4, first 2 shown]
	v_fmac_f32_e32 v7, -0.5, v1
	v_add_f32_e32 v1, v37, v117
	v_add_f32_e32 v5, v0, v39
	;; [unrolled: 1-line block ×4, first 2 shown]
	v_fmamk_f32 v17, v9, 0x3f5db3d7, v7
	v_fmac_f32_e32 v29, -0.5, v1
	v_add_f32_e32 v1, v28, v36
	v_add_f32_e32 v8, v0, v38
	;; [unrolled: 1-line block ×3, first 2 shown]
	v_fmac_f32_e32 v28, -0.5, v3
	v_fmac_f32_e32 v7, 0xbf5db3d7, v9
	v_add_f32_e32 v11, v1, v116
	v_fmamk_f32 v1, v10, 0x3f5db3d7, v29
	v_fma_f32 v6, -0.5, v0, v6
	v_fmac_f32_e32 v29, 0xbf5db3d7, v10
	v_add_f32_e32 v0, v8, v11
	v_mul_f32_e32 v14, 0xbf5db3d7, v1
	v_mul_f32_e32 v15, 0.5, v1
	v_fmamk_f32 v1, v12, 0xbf5db3d7, v28
	v_fmamk_f32 v16, v4, 0xbf5db3d7, v6
	v_fmac_f32_e32 v6, 0x3f5db3d7, v4
	v_fmac_f32_e32 v28, 0x3f5db3d7, v12
	v_mul_f32_e32 v4, 0xbf5db3d7, v29
	v_fmac_f32_e32 v14, 0.5, v1
	v_fmac_f32_e32 v15, 0x3f5db3d7, v1
	v_add_f32_e32 v1, v5, v13
	v_fmac_f32_e32 v4, -0.5, v28
	v_add_f32_e32 v2, v16, v14
	v_add_f32_e32 v3, v17, v15
	s_waitcnt vmcnt(0)
	ds_write2_b64 v18, v[0:1], v[2:3] offset1:6
	v_sub_f32_e32 v1, v5, v13
	v_mul_f32_e32 v5, -0.5, v29
	v_sub_f32_e32 v0, v8, v11
	v_add_f32_e32 v2, v6, v4
	v_fmac_f32_e32 v5, 0x3f5db3d7, v28
	v_add_f32_e32 v3, v7, v5
	ds_write2_b64 v18, v[2:3], v[0:1] offset0:12 offset1:18
	v_sub_f32_e32 v1, v7, v5
	v_sub_f32_e32 v0, v6, v4
	;; [unrolled: 1-line block ×4, first 2 shown]
	ds_write2_b64 v18, v[2:3], v[0:1] offset0:24 offset1:30
	s_waitcnt lgkmcnt(0)
	s_barrier
	buffer_gl0_inv
	ds_read2_b64 v[0:3], v243 offset0:64 offset1:208
	ds_read2_b64 v[4:7], v215 offset1:144
	ds_read2_b64 v[10:13], v46 offset0:32 offset1:176
	ds_read2_b64 v[23:26], v45 offset0:32 offset1:176
	s_waitcnt lgkmcnt(3)
	v_mul_f32_e32 v30, v129, v1
	v_mul_f32_e32 v14, v149, v3
	s_waitcnt lgkmcnt(2)
	v_mul_f32_e32 v28, v131, v5
	v_mul_f32_e32 v32, v151, v7
	s_waitcnt lgkmcnt(0)
	v_mul_f32_e32 v21, v115, v24
	v_fmac_f32_e32 v30, v128, v0
	v_mul_f32_e32 v0, v129, v0
	v_fmac_f32_e32 v14, v148, v2
	v_fmac_f32_e32 v28, v130, v4
	;; [unrolled: 1-line block ×3, first 2 shown]
	v_mul_f32_e32 v17, v71, v11
	v_fma_f32 v31, v128, v1, -v0
	v_mul_f32_e32 v0, v131, v4
	v_fmac_f32_e32 v21, v114, v23
	v_fmac_f32_e32 v17, v70, v10
	v_fma_f32 v29, v130, v5, -v0
	v_mul_f32_e32 v0, v149, v2
	v_fma_f32 v15, v148, v3, -v0
	v_mul_f32_e32 v0, v151, v6
	v_fma_f32 v33, v150, v7, -v0
	ds_read2_b64 v[0:3], v244 offset0:64 offset1:208
	ds_read2_b64 v[4:7], v204 offset1:144
	s_waitcnt lgkmcnt(1)
	v_mul_f32_e32 v34, v133, v1
	v_mul_f32_e32 v38, v172, v3
	s_waitcnt lgkmcnt(0)
	v_mul_f32_e32 v40, v174, v7
	v_mul_f32_e32 v36, v135, v5
	v_fmac_f32_e32 v34, v132, v0
	v_mul_f32_e32 v0, v133, v0
	v_fmac_f32_e32 v38, v171, v2
	v_fmac_f32_e32 v40, v173, v6
	;; [unrolled: 1-line block ×3, first 2 shown]
	v_fma_f32 v35, v132, v1, -v0
	v_mul_f32_e32 v0, v135, v4
	v_fma_f32 v37, v134, v5, -v0
	v_mul_f32_e32 v0, v172, v2
	v_sub_f32_e32 v49, v29, v37
	v_fma_f32 v39, v171, v3, -v0
	v_mul_f32_e32 v0, v174, v6
	v_fma_f32 v41, v173, v7, -v0
	ds_read2_b64 v[0:3], v250 offset0:96 offset1:240
	v_mul_f32_e32 v7, v63, v13
	v_fmac_f32_e32 v7, v62, v12
	s_waitcnt lgkmcnt(0)
	v_mul_f32_e32 v6, v69, v1
	v_mul_f32_e32 v4, v61, v3
	v_fmac_f32_e32 v6, v68, v0
	v_mul_f32_e32 v0, v69, v0
	v_fmac_f32_e32 v4, v60, v2
	v_fma_f32 v9, v68, v1, -v0
	v_mul_f32_e32 v0, v71, v10
	v_fma_f32 v19, v70, v11, -v0
	v_mul_f32_e32 v0, v61, v2
	;; [unrolled: 2-line block ×3, first 2 shown]
	v_mul_f32_e32 v12, v59, v26
	v_fma_f32 v8, v62, v13, -v0
	ds_read2_b64 v[0:3], v47 offset0:96 offset1:240
	v_fmac_f32_e32 v12, v58, v25
	s_waitcnt lgkmcnt(0)
	v_mul_f32_e32 v22, v113, v1
	v_mul_f32_e32 v10, v57, v3
	v_fmac_f32_e32 v22, v112, v0
	v_mul_f32_e32 v0, v113, v0
	v_fmac_f32_e32 v10, v56, v2
	v_fma_f32 v20, v112, v1, -v0
	v_mul_f32_e32 v0, v115, v23
	v_fma_f32 v23, v114, v24, -v0
	v_mul_f32_e32 v0, v57, v2
	v_fma_f32 v11, v56, v3, -v0
	v_mul_f32_e32 v0, v59, v25
	v_fma_f32 v13, v58, v26, -v0
	ds_read2_b64 v[0:3], v230 offset0:64 offset1:208
	ds_read2_b64 v[24:27], v203 offset1:144
	s_waitcnt lgkmcnt(1)
	v_mul_f32_e32 v42, v170, v1
	v_mul_f32_e32 v44, v176, v3
	v_fmac_f32_e32 v42, v169, v0
	v_mul_f32_e32 v0, v170, v0
	v_fmac_f32_e32 v44, v175, v2
	v_fma_f32 v43, v169, v1, -v0
	v_mul_f32_e32 v0, v176, v2
	v_fma_f32 v45, v175, v3, -v0
	ds_read2_b64 v[0:3], v240 offset0:96 offset1:240
	s_waitcnt lgkmcnt(0)
	v_mul_f32_e32 v46, v180, v1
	v_mul_f32_e32 v16, v186, v3
	v_fmac_f32_e32 v46, v179, v0
	v_mul_f32_e32 v0, v180, v0
	v_fmac_f32_e32 v16, v185, v2
	v_fma_f32 v47, v179, v1, -v0
	v_mul_f32_e32 v0, v186, v2
	v_add_f32_e32 v1, v24, v28
	v_add_f32_e32 v2, v35, v43
	v_fma_f32 v18, v185, v3, -v0
	v_add_f32_e32 v0, v25, v29
	v_add_f32_e32 v3, v31, v35
	v_fmac_f32_e32 v31, -0.5, v2
	v_add_f32_e32 v2, v30, v34
	v_sub_f32_e32 v35, v35, v43
	v_add_f32_e32 v48, v0, v37
	v_add_f32_e32 v0, v29, v37
	;; [unrolled: 1-line block ×4, first 2 shown]
	v_sub_f32_e32 v36, v28, v36
	v_add_f32_e32 v28, v34, v42
	v_sub_f32_e32 v34, v34, v42
	v_add_f32_e32 v42, v2, v42
	v_add_f32_e32 v43, v3, v43
	v_fma_f32 v56, -0.5, v1, v24
	v_fmac_f32_e32 v30, -0.5, v28
	v_fmamk_f32 v2, v34, 0x3f5db3d7, v31
	v_fma_f32 v57, -0.5, v0, v25
	v_add_f32_e32 v24, v37, v42
	v_fmamk_f32 v58, v49, 0xbf5db3d7, v56
	v_add_f32_e32 v25, v48, v43
	v_mul_f32_e32 v50, 0xbf5db3d7, v2
	v_mul_f32_e32 v51, 0.5, v2
	v_fmamk_f32 v2, v35, 0xbf5db3d7, v30
	v_fmamk_f32 v59, v36, 0x3f5db3d7, v57
	v_fmac_f32_e32 v31, 0xbf5db3d7, v34
	v_fmac_f32_e32 v30, 0x3f5db3d7, v35
	;; [unrolled: 1-line block ×3, first 2 shown]
	v_fmac_f32_e32 v50, 0.5, v2
	v_fmac_f32_e32 v51, 0x3f5db3d7, v2
	ds_read2_b64 v[0:3], v255 offset0:32 offset1:176
	s_waitcnt lgkmcnt(0)
	s_barrier
	buffer_gl0_inv
	buffer_load_dword v60, off, s[20:23], 0 offset:136 ; 4-byte Folded Reload
	v_add_f32_e32 v28, v58, v50
	v_add_f32_e32 v29, v59, v51
	v_mul_f32_e32 v34, 0xbf5db3d7, v31
	v_mul_f32_e32 v31, -0.5, v31
	v_fmac_f32_e32 v57, 0xbf5db3d7, v36
	v_sub_f32_e32 v35, v38, v44
	v_fmac_f32_e32 v34, -0.5, v30
	v_fmac_f32_e32 v31, 0x3f5db3d7, v30
	v_sub_f32_e32 v30, v32, v40
	s_waitcnt vmcnt(0)
	ds_write2_b64 v60, v[24:25], v[28:29] offset1:36
	v_sub_f32_e32 v24, v37, v42
	buffer_load_dword v42, off, s[20:23], 0 offset:132 ; 4-byte Folded Reload
	v_sub_f32_e32 v25, v48, v43
	v_add_f32_e32 v28, v56, v34
	v_add_f32_e32 v29, v57, v31
	v_sub_f32_e32 v37, v39, v45
	ds_write2_b64 v60, v[28:29], v[24:25] offset0:72 offset1:108
	v_sub_f32_e32 v24, v58, v50
	v_sub_f32_e32 v25, v59, v51
	;; [unrolled: 1-line block ×4, first 2 shown]
	v_add_f32_e32 v31, v32, v40
	ds_write2_b64 v60, v[24:25], v[28:29] offset0:144 offset1:180
	v_add_f32_e32 v24, v33, v41
	v_add_f32_e32 v25, v27, v33
	;; [unrolled: 1-line block ×4, first 2 shown]
	v_sub_f32_e32 v33, v33, v41
	v_fmac_f32_e32 v27, -0.5, v24
	v_add_f32_e32 v24, v38, v44
	v_add_f32_e32 v34, v25, v41
	;; [unrolled: 1-line block ×4, first 2 shown]
	v_fmamk_f32 v41, v30, 0x3f5db3d7, v27
	v_fmac_f32_e32 v14, -0.5, v24
	v_add_f32_e32 v24, v39, v45
	v_fmac_f32_e32 v27, 0xbf5db3d7, v30
	v_add_f32_e32 v25, v34, v38
	v_fmac_f32_e32 v15, -0.5, v24
	v_add_f32_e32 v24, v26, v32
	v_fma_f32 v26, -0.5, v31, v26
	v_add_f32_e32 v32, v24, v40
	v_fmamk_f32 v24, v35, 0x3f5db3d7, v15
	v_fmamk_f32 v31, v33, 0xbf5db3d7, v26
	v_fmac_f32_e32 v15, 0xbf5db3d7, v35
	v_fmac_f32_e32 v26, 0x3f5db3d7, v33
	v_mul_f32_e32 v39, 0xbf5db3d7, v24
	v_mul_f32_e32 v40, 0.5, v24
	v_fmamk_f32 v24, v37, 0xbf5db3d7, v14
	v_fmac_f32_e32 v14, 0x3f5db3d7, v37
	v_fmac_f32_e32 v39, 0.5, v24
	v_fmac_f32_e32 v40, 0x3f5db3d7, v24
	v_add_f32_e32 v24, v32, v36
	v_add_f32_e32 v28, v31, v39
	;; [unrolled: 1-line block ×3, first 2 shown]
	s_waitcnt vmcnt(0)
	ds_write2_b64 v42, v[24:25], v[28:29] offset1:36
	v_sub_f32_e32 v24, v32, v36
	buffer_load_dword v32, off, s[20:23], 0 offset:156 ; 4-byte Folded Reload
	v_mul_f32_e32 v28, -0.5, v15
	v_mul_f32_e32 v29, 0xbf5db3d7, v15
	v_sub_f32_e32 v25, v34, v38
	v_fmac_f32_e32 v28, 0x3f5db3d7, v14
	v_fmac_f32_e32 v29, -0.5, v14
	v_add_f32_e32 v15, v27, v28
	v_add_f32_e32 v14, v26, v29
	ds_write2_b64 v42, v[14:15], v[24:25] offset0:72 offset1:108
	v_sub_f32_e32 v15, v27, v28
	v_sub_f32_e32 v14, v26, v29
	;; [unrolled: 1-line block ×4, first 2 shown]
	v_add_f32_e32 v26, v19, v23
	v_add_f32_e32 v27, v17, v21
	ds_write2_b64 v42, v[24:25], v[14:15] offset0:144 offset1:180
	v_add_f32_e32 v14, v20, v47
	v_add_f32_e32 v15, v9, v20
	v_sub_f32_e32 v20, v20, v47
	v_add_f32_e32 v25, v1, v19
	v_sub_f32_e32 v19, v19, v23
	v_fmac_f32_e32 v9, -0.5, v14
	v_add_f32_e32 v14, v6, v22
	v_fma_f32 v27, -0.5, v27, v0
	v_add_f32_e32 v25, v25, v23
	v_add_f32_e32 v23, v0, v17
	v_sub_f32_e32 v17, v17, v21
	v_add_f32_e32 v24, v14, v46
	v_add_f32_e32 v14, v22, v46
	v_sub_f32_e32 v22, v22, v46
	v_fma_f32 v26, -0.5, v26, v1
	v_add_f32_e32 v23, v23, v21
	v_add_f32_e32 v21, v15, v47
	v_fmac_f32_e32 v6, -0.5, v14
	v_fmamk_f32 v14, v22, 0x3f5db3d7, v9
	v_fmac_f32_e32 v9, 0xbf5db3d7, v22
	v_fmamk_f32 v30, v19, 0xbf5db3d7, v27
	v_fmamk_f32 v31, v17, 0x3f5db3d7, v26
	v_fmac_f32_e32 v26, 0xbf5db3d7, v17
	v_mul_f32_e32 v28, 0xbf5db3d7, v14
	v_mul_f32_e32 v29, 0.5, v14
	v_fmamk_f32 v14, v20, 0xbf5db3d7, v6
	v_fmac_f32_e32 v6, 0x3f5db3d7, v20
	buffer_load_dword v20, off, s[20:23], 0 offset:140 ; 4-byte Folded Reload
	v_mul_f32_e32 v17, 0xbf5db3d7, v9
	v_mul_f32_e32 v9, -0.5, v9
	v_fmac_f32_e32 v28, 0.5, v14
	v_fmac_f32_e32 v29, 0x3f5db3d7, v14
	v_add_f32_e32 v0, v23, v24
	v_add_f32_e32 v1, v25, v21
	v_fmac_f32_e32 v27, 0x3f5db3d7, v19
	v_add_f32_e32 v14, v30, v28
	v_add_f32_e32 v15, v31, v29
	v_fmac_f32_e32 v17, -0.5, v6
	v_fmac_f32_e32 v9, 0x3f5db3d7, v6
	v_add_f32_e32 v6, v4, v10
	s_waitcnt vmcnt(1)
	ds_write2_b64 v32, v[0:1], v[14:15] offset1:36
	v_sub_f32_e32 v0, v23, v24
	v_sub_f32_e32 v1, v25, v21
	v_add_f32_e32 v14, v27, v17
	v_add_f32_e32 v15, v26, v9
	ds_write2_b64 v32, v[14:15], v[0:1] offset0:72 offset1:108
	v_sub_f32_e32 v0, v30, v28
	v_sub_f32_e32 v1, v31, v29
	;; [unrolled: 1-line block ×4, first 2 shown]
	v_add_f32_e32 v9, v5, v11
	ds_write2_b64 v32, v[0:1], v[14:15] offset0:144 offset1:180
	v_add_f32_e32 v0, v8, v13
	v_add_f32_e32 v1, v3, v8
	v_sub_f32_e32 v14, v7, v12
	v_sub_f32_e32 v8, v8, v13
	v_add_f32_e32 v15, v6, v16
	v_fmac_f32_e32 v3, -0.5, v0
	v_add_f32_e32 v0, v10, v16
	v_sub_f32_e32 v10, v10, v16
	v_add_f32_e32 v13, v1, v13
	v_add_f32_e32 v9, v9, v18
	v_fmamk_f32 v19, v14, 0x3f5db3d7, v3
	v_fmac_f32_e32 v4, -0.5, v0
	v_add_f32_e32 v0, v11, v18
	v_sub_f32_e32 v11, v11, v18
	v_add_f32_e32 v1, v13, v9
	v_fmac_f32_e32 v3, 0xbf5db3d7, v14
	v_fmac_f32_e32 v5, -0.5, v0
	v_add_f32_e32 v0, v2, v7
	v_add_f32_e32 v7, v7, v12
	;; [unrolled: 1-line block ×3, first 2 shown]
	v_fmamk_f32 v0, v10, 0x3f5db3d7, v5
	v_fma_f32 v2, -0.5, v7, v2
	v_fmac_f32_e32 v5, 0xbf5db3d7, v10
	v_mul_f32_e32 v16, 0xbf5db3d7, v0
	v_mul_f32_e32 v17, 0.5, v0
	v_fmamk_f32 v0, v11, 0xbf5db3d7, v4
	v_fmamk_f32 v18, v8, 0xbf5db3d7, v2
	v_fmac_f32_e32 v4, 0x3f5db3d7, v11
	v_fmac_f32_e32 v2, 0x3f5db3d7, v8
	v_fmac_f32_e32 v16, 0.5, v0
	v_fmac_f32_e32 v17, 0x3f5db3d7, v0
	v_add_f32_e32 v0, v12, v15
	v_add_f32_e32 v6, v18, v16
	;; [unrolled: 1-line block ×3, first 2 shown]
	s_waitcnt vmcnt(0)
	ds_write2_b64 v20, v[0:1], v[6:7] offset1:36
	v_mul_f32_e32 v6, -0.5, v5
	v_mul_f32_e32 v7, 0xbf5db3d7, v5
	v_sub_f32_e32 v0, v12, v15
	v_sub_f32_e32 v1, v13, v9
	v_fmac_f32_e32 v6, 0x3f5db3d7, v4
	v_fmac_f32_e32 v7, -0.5, v4
	v_add_f32_e32 v5, v3, v6
	v_add_f32_e32 v4, v2, v7
	ds_write2_b64 v20, v[4:5], v[0:1] offset0:72 offset1:108
	v_sub_f32_e32 v1, v3, v6
	v_sub_f32_e32 v0, v2, v7
	;; [unrolled: 1-line block ×4, first 2 shown]
	ds_write2_b64 v20, v[2:3], v[0:1] offset0:144 offset1:180
	s_waitcnt lgkmcnt(0)
	s_barrier
	buffer_gl0_inv
	ds_read2_b64 v[0:3], v250 offset0:96 offset1:240
	ds_read2_b64 v[4:7], v244 offset0:64 offset1:208
	s_waitcnt lgkmcnt(1)
	v_mul_f32_e32 v8, v65, v1
	v_mul_f32_e32 v18, v53, v3
	s_waitcnt lgkmcnt(0)
	v_mul_f32_e32 v10, v67, v5
	v_mul_f32_e32 v20, v55, v7
	v_fmac_f32_e32 v8, v64, v0
	v_mul_f32_e32 v0, v65, v0
	v_fmac_f32_e32 v18, v52, v2
	v_fmac_f32_e32 v10, v66, v4
	v_fmac_f32_e32 v20, v54, v6
	v_fma_f32 v9, v64, v1, -v0
	v_mul_f32_e32 v0, v67, v4
	v_fma_f32 v11, v66, v5, -v0
	v_mul_f32_e32 v0, v53, v2
	;; [unrolled: 2-line block ×3, first 2 shown]
	v_fma_f32 v21, v54, v7, -v0
	ds_read2_b64 v[0:3], v215 offset1:144
	ds_read2_b64 v[4:7], v249 offset0:96 offset1:240
	s_waitcnt lgkmcnt(1)
	v_mul_f32_e32 v22, v77, v1
	v_mul_f32_e32 v26, v73, v3
	s_waitcnt lgkmcnt(0)
	v_mul_f32_e32 v24, v79, v5
	v_mul_f32_e32 v28, v75, v7
	v_fmac_f32_e32 v22, v76, v0
	v_mul_f32_e32 v0, v77, v0
	v_fmac_f32_e32 v26, v72, v2
	v_fmac_f32_e32 v24, v78, v4
	;; [unrolled: 1-line block ×3, first 2 shown]
	v_fma_f32 v23, v76, v1, -v0
	v_mul_f32_e32 v0, v79, v4
	v_fma_f32 v25, v78, v5, -v0
	v_mul_f32_e32 v0, v73, v2
	;; [unrolled: 2-line block ×3, first 2 shown]
	v_fma_f32 v29, v74, v7, -v0
	ds_read2_b64 v[0:3], v246 offset0:32 offset1:176
	ds_read2_b64 v[4:7], v204 offset1:144
	s_waitcnt lgkmcnt(1)
	v_mul_f32_e32 v30, v89, v1
	v_mul_f32_e32 v34, v81, v3
	s_waitcnt lgkmcnt(0)
	v_mul_f32_e32 v32, v91, v5
	v_mul_f32_e32 v36, v83, v7
	v_fmac_f32_e32 v30, v88, v0
	v_mul_f32_e32 v0, v89, v0
	v_fmac_f32_e32 v34, v80, v2
	v_fmac_f32_e32 v32, v90, v4
	;; [unrolled: 1-line block ×3, first 2 shown]
	v_fma_f32 v31, v88, v1, -v0
	v_mul_f32_e32 v0, v91, v4
	v_fma_f32 v33, v90, v5, -v0
	v_mul_f32_e32 v0, v81, v2
	v_fma_f32 v35, v80, v3, -v0
	v_mul_f32_e32 v0, v83, v6
	v_fma_f32 v37, v82, v7, -v0
	ds_read2_b64 v[0:3], v245 offset0:32 offset1:176
	s_waitcnt lgkmcnt(0)
	v_mul_f32_e32 v4, v162, v1
	v_mul_f32_e32 v38, v164, v3
	v_fmac_f32_e32 v4, v161, v0
	v_mul_f32_e32 v0, v162, v0
	v_fmac_f32_e32 v38, v163, v2
	v_sub_f32_e32 v4, v8, v4
	v_fma_f32 v5, v161, v1, -v0
	v_mul_f32_e32 v0, v164, v2
	v_fma_f32 v8, v8, 2.0, -v4
	v_sub_f32_e32 v5, v9, v5
	v_fma_f32 v39, v163, v3, -v0
	ds_read2_b64 v[0:3], v230 offset0:64 offset1:208
	v_fma_f32 v9, v9, 2.0, -v5
	s_waitcnt lgkmcnt(0)
	v_mul_f32_e32 v40, v178, v1
	v_mul_f32_e32 v42, v182, v3
	v_fmac_f32_e32 v40, v177, v0
	v_mul_f32_e32 v0, v178, v0
	v_fmac_f32_e32 v42, v181, v2
	v_fma_f32 v41, v177, v1, -v0
	v_mul_f32_e32 v0, v182, v2
	v_fma_f32 v43, v181, v3, -v0
	ds_read2_b64 v[0:3], v240 offset0:96 offset1:240
	s_waitcnt lgkmcnt(0)
	v_mul_f32_e32 v44, v190, v1
	v_mul_f32_e32 v46, v192, v3
	v_fmac_f32_e32 v44, v189, v0
	v_mul_f32_e32 v0, v190, v0
	v_fmac_f32_e32 v46, v191, v2
	v_fma_f32 v45, v189, v1, -v0
	v_mul_f32_e32 v0, v192, v2
	v_fma_f32 v47, v191, v3, -v0
	ds_read2_b64 v[0:3], v203 offset1:144
	s_waitcnt lgkmcnt(0)
	v_sub_f32_e32 v6, v0, v10
	v_sub_f32_e32 v7, v1, v11
	v_fma_f32 v10, v0, 2.0, -v6
	v_fma_f32 v11, v1, 2.0, -v7
	v_add_f32_e32 v12, v6, v5
	v_sub_f32_e32 v13, v7, v4
	v_sub_f32_e32 v0, v10, v8
	;; [unrolled: 1-line block ×3, first 2 shown]
	v_fma_f32 v16, v6, 2.0, -v12
	v_fma_f32 v17, v7, 2.0, -v13
	;; [unrolled: 1-line block ×4, first 2 shown]
	ds_read2_b64 v[4:7], v255 offset0:32 offset1:176
	ds_read2_b64 v[8:11], v243 offset0:64 offset1:208
	s_waitcnt lgkmcnt(0)
	s_barrier
	buffer_gl0_inv
	ds_write2_b64 v203, v[14:15], v[16:17] offset1:216
	buffer_load_dword v16, off, s[20:23], 0 offset:148 ; 4-byte Folded Reload
	v_add_nc_u32_e32 v14, 0xd00, v203
	v_sub_f32_e32 v15, v3, v21
	ds_write2_b64 v14, v[0:1], v[12:13] offset0:16 offset1:232
	v_sub_f32_e32 v14, v2, v20
	v_fma_f32 v13, v3, 2.0, -v15
	v_sub_f32_e32 v3, v18, v38
	v_fma_f32 v12, v2, 2.0, -v14
	;; [unrolled: 2-line block ×4, first 2 shown]
	v_sub_f32_e32 v0, v12, v0
	v_add_f32_e32 v2, v14, v2
	v_fma_f32 v15, v15, 2.0, -v3
	v_sub_f32_e32 v1, v13, v1
	v_fma_f32 v12, v12, 2.0, -v0
	v_fma_f32 v14, v14, 2.0, -v2
	;; [unrolled: 1-line block ×3, first 2 shown]
	s_waitcnt vmcnt(0)
	ds_write2_b64 v16, v[12:13], v[14:15] offset1:216
	buffer_load_dword v12, off, s[20:23], 0 offset:144 ; 4-byte Folded Reload
	v_sub_f32_e32 v13, v5, v25
	v_add_nc_u32_e32 v14, 0x1d00, v203
	v_fma_f32 v5, v5, 2.0, -v13
	s_waitcnt vmcnt(0)
	ds_write2_b64 v12, v[0:1], v[2:3] offset0:16 offset1:232
	v_sub_f32_e32 v3, v22, v40
	v_sub_f32_e32 v2, v23, v41
	;; [unrolled: 1-line block ×3, first 2 shown]
	v_fma_f32 v0, v22, 2.0, -v3
	v_fma_f32 v1, v23, 2.0, -v2
	;; [unrolled: 1-line block ×3, first 2 shown]
	v_add_f32_e32 v2, v12, v2
	v_sub_f32_e32 v3, v13, v3
	v_sub_f32_e32 v1, v5, v1
	;; [unrolled: 1-line block ×3, first 2 shown]
	v_fma_f32 v12, v12, 2.0, -v2
	v_fma_f32 v13, v13, 2.0, -v3
	;; [unrolled: 1-line block ×4, first 2 shown]
	ds_write2_b64 v14, v[4:5], v[12:13] offset0:8 offset1:224
	v_add_nc_u32_e32 v4, 0x2a00, v203
	v_sub_f32_e32 v12, v6, v28
	v_sub_f32_e32 v13, v7, v29
	ds_write2_b64 v4, v[0:1], v[2:3] offset0:24 offset1:240
	v_sub_f32_e32 v2, v27, v43
	v_fma_f32 v4, v6, 2.0, -v12
	v_sub_f32_e32 v3, v26, v42
	v_fma_f32 v5, v7, 2.0, -v13
	v_fma_f32 v1, v27, 2.0, -v2
	v_add_f32_e32 v2, v12, v2
	v_fma_f32 v0, v26, 2.0, -v3
	v_sub_f32_e32 v3, v13, v3
	v_sub_f32_e32 v1, v5, v1
	v_fma_f32 v6, v12, 2.0, -v2
	buffer_load_dword v12, off, s[20:23], 0 offset:152 ; 4-byte Folded Reload
	v_sub_f32_e32 v0, v4, v0
	v_fma_f32 v7, v13, 2.0, -v3
	v_fma_f32 v5, v5, 2.0, -v1
	;; [unrolled: 1-line block ×3, first 2 shown]
	s_waitcnt vmcnt(0)
	ds_write2_b64 v12, v[4:5], v[6:7] offset1:216
	buffer_load_dword v4, off, s[20:23], 0 offset:160 ; 4-byte Folded Reload
	v_sub_f32_e32 v6, v8, v32
	v_sub_f32_e32 v7, v9, v33
	v_fma_f32 v5, v9, 2.0, -v7
	s_waitcnt vmcnt(0)
	ds_write2_b64 v4, v[0:1], v[2:3] offset0:16 offset1:232
	v_fma_f32 v4, v8, 2.0, -v6
	buffer_load_dword v8, off, s[20:23], 0 offset:176 ; 4-byte Folded Reload
	v_sub_f32_e32 v3, v30, v44
	v_sub_f32_e32 v2, v31, v45
	v_fma_f32 v0, v30, 2.0, -v3
	v_fma_f32 v1, v31, 2.0, -v2
	v_add_f32_e32 v2, v6, v2
	v_sub_f32_e32 v3, v7, v3
	v_sub_f32_e32 v0, v4, v0
	;; [unrolled: 1-line block ×3, first 2 shown]
	v_fma_f32 v6, v6, 2.0, -v2
	v_fma_f32 v7, v7, 2.0, -v3
	;; [unrolled: 1-line block ×4, first 2 shown]
	s_waitcnt vmcnt(0)
	ds_write2_b64 v8, v[4:5], v[6:7] offset1:216
	s_clause 0x1
	buffer_load_dword v4, off, s[20:23], 0 offset:164
	buffer_load_dword v8, off, s[20:23], 0 offset:168
	v_sub_f32_e32 v6, v10, v36
	v_sub_f32_e32 v7, v11, v37
	v_fma_f32 v5, v11, 2.0, -v7
	s_waitcnt vmcnt(1)
	ds_write2_b64 v4, v[0:1], v[2:3] offset0:16 offset1:232
	v_sub_f32_e32 v3, v34, v46
	v_sub_f32_e32 v2, v35, v47
	v_fma_f32 v4, v10, 2.0, -v6
	v_fma_f32 v0, v34, 2.0, -v3
	;; [unrolled: 1-line block ×3, first 2 shown]
	v_add_f32_e32 v2, v6, v2
	v_sub_f32_e32 v3, v7, v3
	v_sub_f32_e32 v0, v4, v0
	;; [unrolled: 1-line block ×3, first 2 shown]
	v_fma_f32 v6, v6, 2.0, -v2
	v_fma_f32 v7, v7, 2.0, -v3
	;; [unrolled: 1-line block ×4, first 2 shown]
	s_waitcnt vmcnt(0)
	ds_write2_b64 v8, v[4:5], v[6:7] offset0:32 offset1:248
	buffer_load_dword v4, off, s[20:23], 0 offset:172 ; 4-byte Folded Reload
	s_waitcnt vmcnt(0)
	ds_write2_b64 v4, v[0:1], v[2:3] offset0:16 offset1:232
	s_waitcnt lgkmcnt(0)
	s_barrier
	buffer_gl0_inv
	ds_read2_b64 v[0:3], v250 offset0:96 offset1:240
	ds_read2_b64 v[4:7], v244 offset0:64 offset1:208
	s_waitcnt lgkmcnt(1)
	v_mul_f32_e32 v12, v93, v1
	v_mul_f32_e32 v14, v85, v3
	s_waitcnt lgkmcnt(0)
	v_mul_f32_e32 v8, v95, v5
	v_mul_f32_e32 v10, v87, v7
	v_fmac_f32_e32 v12, v92, v0
	v_mul_f32_e32 v0, v93, v0
	v_fmac_f32_e32 v14, v84, v2
	v_fmac_f32_e32 v8, v94, v4
	;; [unrolled: 1-line block ×3, first 2 shown]
	v_fma_f32 v13, v92, v1, -v0
	v_mul_f32_e32 v0, v95, v4
	v_fma_f32 v9, v94, v5, -v0
	v_mul_f32_e32 v0, v85, v2
	;; [unrolled: 2-line block ×3, first 2 shown]
	v_fma_f32 v11, v86, v7, -v0
	ds_read2_b64 v[0:3], v215 offset1:144
	ds_read2_b64 v[4:7], v249 offset0:96 offset1:240
	s_waitcnt lgkmcnt(1)
	v_mul_f32_e32 v18, v101, v1
	v_mul_f32_e32 v20, v97, v3
	s_waitcnt lgkmcnt(0)
	v_mul_f32_e32 v16, v103, v5
	v_mul_f32_e32 v22, v99, v7
	v_fmac_f32_e32 v18, v100, v0
	v_mul_f32_e32 v0, v101, v0
	v_fmac_f32_e32 v20, v96, v2
	v_fmac_f32_e32 v16, v102, v4
	;; [unrolled: 1-line block ×3, first 2 shown]
	v_fma_f32 v19, v100, v1, -v0
	v_mul_f32_e32 v0, v103, v4
	v_fma_f32 v17, v102, v5, -v0
	v_mul_f32_e32 v0, v97, v2
	;; [unrolled: 2-line block ×3, first 2 shown]
	v_fma_f32 v23, v98, v7, -v0
	ds_read2_b64 v[0:3], v246 offset0:32 offset1:176
	ds_read2_b64 v[4:7], v204 offset1:144
	s_waitcnt lgkmcnt(1)
	v_mul_f32_e32 v24, v109, v1
	v_mul_f32_e32 v28, v105, v3
	s_waitcnt lgkmcnt(0)
	v_mul_f32_e32 v26, v111, v5
	v_mul_f32_e32 v30, v107, v7
	v_fmac_f32_e32 v24, v108, v0
	v_mul_f32_e32 v0, v109, v0
	v_fmac_f32_e32 v28, v104, v2
	v_fmac_f32_e32 v26, v110, v4
	v_fmac_f32_e32 v30, v106, v6
	v_fma_f32 v25, v108, v1, -v0
	v_mul_f32_e32 v0, v111, v4
	v_fma_f32 v27, v110, v5, -v0
	v_mul_f32_e32 v0, v105, v2
	v_fma_f32 v29, v104, v3, -v0
	v_mul_f32_e32 v0, v107, v6
	v_fma_f32 v31, v106, v7, -v0
	ds_read2_b64 v[0:3], v245 offset0:32 offset1:176
	s_waitcnt lgkmcnt(0)
	v_mul_f32_e32 v4, v188, v1
	v_mul_f32_e32 v32, v184, v3
	v_fmac_f32_e32 v4, v187, v0
	v_mul_f32_e32 v0, v188, v0
	v_fmac_f32_e32 v32, v183, v2
	v_sub_f32_e32 v49, v12, v4
	v_fma_f32 v5, v187, v1, -v0
	v_mul_f32_e32 v0, v184, v2
	v_sub_f32_e32 v32, v14, v32
	v_sub_f32_e32 v48, v13, v5
	v_fma_f32 v33, v183, v3, -v0
	ds_read2_b64 v[0:3], v230 offset0:64 offset1:208
	v_sub_f32_e32 v33, v15, v33
	s_waitcnt lgkmcnt(0)
	v_mul_f32_e32 v34, v196, v1
	v_mul_f32_e32 v36, v194, v3
	v_fmac_f32_e32 v34, v195, v0
	v_mul_f32_e32 v0, v196, v0
	v_fmac_f32_e32 v36, v193, v2
	v_sub_f32_e32 v34, v18, v34
	v_fma_f32 v35, v195, v1, -v0
	v_mul_f32_e32 v0, v194, v2
	v_sub_f32_e32 v36, v20, v36
	v_sub_f32_e32 v35, v19, v35
	v_fma_f32 v37, v193, v3, -v0
	ds_read2_b64 v[0:3], v240 offset0:96 offset1:240
	v_sub_f32_e32 v37, v21, v37
	s_waitcnt lgkmcnt(0)
	v_mul_f32_e32 v38, v200, v1
	v_mul_f32_e32 v40, v198, v3
	v_fmac_f32_e32 v38, v199, v0
	v_mul_f32_e32 v0, v200, v0
	v_fmac_f32_e32 v40, v197, v2
	v_sub_f32_e32 v38, v24, v38
	v_fma_f32 v39, v199, v1, -v0
	v_mul_f32_e32 v0, v198, v2
	v_sub_f32_e32 v39, v25, v39
	v_fma_f32 v41, v197, v3, -v0
	ds_read2_b64 v[0:3], v203 offset1:144
	s_waitcnt lgkmcnt(0)
	v_sub_f32_e32 v6, v0, v8
	v_sub_f32_e32 v7, v1, v9
	;; [unrolled: 1-line block ×4, first 2 shown]
	v_add_f32_e32 v8, v6, v48
	v_sub_f32_e32 v9, v7, v49
	v_fma_f32 v44, v0, 2.0, -v6
	v_fma_f32 v45, v1, 2.0, -v7
	;; [unrolled: 1-line block ×6, first 2 shown]
	ds_read2_b64 v[0:3], v255 offset0:32 offset1:176
	ds_read2_b64 v[4:7], v243 offset0:64 offset1:208
	ds_write_b64 v203, v[10:11] offset:6912
	v_fma_f32 v10, v12, 2.0, -v49
	v_fma_f32 v11, v13, 2.0, -v48
	v_sub_f32_e32 v10, v44, v10
	v_sub_f32_e32 v11, v45, v11
	ds_write_b64 v203, v[10:11] offset:13824
	ds_write_b64 v203, v[8:9] offset:20736
	v_fma_f32 v8, v14, 2.0, -v32
	v_fma_f32 v9, v15, 2.0, -v33
	;; [unrolled: 1-line block ×4, first 2 shown]
	v_add_nc_u32_e32 v14, 0x1e00, v203
	v_sub_f32_e32 v8, v46, v8
	v_sub_f32_e32 v9, v47, v9
	s_waitcnt lgkmcnt(4)
	v_sub_f32_e32 v22, v2, v22
	v_sub_f32_e32 v23, v3, v23
	s_waitcnt lgkmcnt(3)
	v_sub_f32_e32 v26, v4, v26
	v_fma_f32 v10, v46, 2.0, -v8
	v_fma_f32 v11, v47, 2.0, -v9
	ds_write2_b64 v203, v[12:13], v[10:11] offset1:144
	ds_write_b64 v203, v[8:9] offset:14976
	v_add_f32_e32 v8, v42, v33
	v_sub_f32_e32 v9, v43, v32
	v_sub_f32_e32 v32, v0, v16
	;; [unrolled: 1-line block ×4, first 2 shown]
	v_fma_f32 v10, v42, 2.0, -v8
	v_fma_f32 v11, v43, 2.0, -v9
	ds_write_b64 v203, v[8:9] offset:21888
	v_add_f32_e32 v8, v32, v35
	v_sub_f32_e32 v9, v33, v34
	v_add_nc_u32_e32 v42, 0x2800, v203
	v_fma_f32 v4, v4, 2.0, -v26
	v_fma_f32 v5, v5, 2.0, -v27
	;; [unrolled: 1-line block ×4, first 2 shown]
	ds_write2_b64 v14, v[10:11], v[12:13] offset0:48 offset1:192
	v_add_f32_e32 v10, v22, v37
	v_sub_f32_e32 v11, v23, v36
	v_add_f32_e32 v12, v26, v39
	v_sub_f32_e32 v13, v27, v38
	v_fma_f32 v14, v22, 2.0, -v10
	v_fma_f32 v15, v23, 2.0, -v11
	;; [unrolled: 1-line block ×4, first 2 shown]
	ds_write2_b64 v42, v[14:15], v[16:17] offset0:16 offset1:160
	v_fma_f32 v14, v0, 2.0, -v32
	v_fma_f32 v15, v1, 2.0, -v33
	;; [unrolled: 1-line block ×8, first 2 shown]
	v_sub_f32_e32 v0, v14, v0
	v_sub_f32_e32 v1, v15, v1
	;; [unrolled: 1-line block ×4, first 2 shown]
	v_fma_f32 v14, v14, 2.0, -v0
	v_fma_f32 v15, v15, 2.0, -v1
	;; [unrolled: 1-line block ×4, first 2 shown]
	ds_write2_b64 v255, v[14:15], v[16:17] offset0:32 offset1:176
	ds_write2_b64 v249, v[0:1], v[2:3] offset0:96 offset1:240
	;; [unrolled: 1-line block ×3, first 2 shown]
	v_sub_f32_e32 v8, v6, v30
	v_sub_f32_e32 v9, v7, v31
	;; [unrolled: 1-line block ×4, first 2 shown]
	v_fma_f32 v0, v24, 2.0, -v38
	v_fma_f32 v6, v6, 2.0, -v8
	;; [unrolled: 1-line block ×6, first 2 shown]
	v_sub_f32_e32 v0, v4, v0
	v_sub_f32_e32 v1, v5, v1
	;; [unrolled: 1-line block ×4, first 2 shown]
	v_fma_f32 v4, v4, 2.0, -v0
	v_fma_f32 v5, v5, 2.0, -v1
	;; [unrolled: 1-line block ×4, first 2 shown]
	ds_write2_b64 v243, v[4:5], v[6:7] offset0:64 offset1:208
	v_add_f32_e32 v4, v8, v11
	v_sub_f32_e32 v5, v9, v10
	v_fma_f32 v6, v8, 2.0, -v4
	v_fma_f32 v7, v9, 2.0, -v5
	ds_write2_b64 v204, v[0:1], v[2:3] offset1:144
	ds_write2_b64 v240, v[12:13], v[4:5] offset0:96 offset1:240
	ds_write_b64 v203, v[6:7] offset:12672
	s_waitcnt lgkmcnt(0)
	s_barrier
	buffer_gl0_inv
	ds_read2_b64 v[0:3], v203 offset1:144
	ds_read2_b64 v[4:7], v243 offset0:64 offset1:208
	s_clause 0x1
	buffer_load_dword v9, off, s[20:23], 0 offset:60
	buffer_load_dword v10, off, s[20:23], 0 offset:64
	s_waitcnt lgkmcnt(0)
	v_mul_f32_e32 v34, v212, v7
	v_fmac_f32_e32 v34, v211, v6
	s_waitcnt vmcnt(0)
	v_mul_f32_e32 v12, v10, v1
	v_mul_f32_e32 v8, v10, v0
	v_fmac_f32_e32 v12, v9, v0
	v_fma_f32 v14, v9, v1, -v8
	ds_read2_b64 v[8:11], v215 offset1:144
	s_clause 0x3
	buffer_load_dword v15, off, s[20:23], 0 offset:68
	buffer_load_dword v16, off, s[20:23], 0 offset:72
	;; [unrolled: 1-line block ×4, first 2 shown]
	s_waitcnt lgkmcnt(0)
	v_mul_f32_e32 v38, v208, v11
	v_fmac_f32_e32 v38, v207, v10
	s_waitcnt vmcnt(2)
	v_mul_f32_e32 v26, v16, v3
	v_mul_f32_e32 v0, v16, v2
	s_waitcnt vmcnt(0)
	v_mul_f32_e32 v16, v18, v5
	v_mul_f32_e32 v13, v18, v4
	v_fmac_f32_e32 v26, v15, v2
	v_fma_f32 v28, v15, v3, -v0
	v_mul_f32_e32 v15, v212, v6
	ds_read2_b64 v[0:3], v244 offset0:64 offset1:208
	v_fmac_f32_e32 v16, v17, v4
	v_fma_f32 v18, v17, v5, -v13
	v_fma_f32 v35, v211, v7, -v15
	ds_read2_b64 v[4:7], v204 offset1:144
	s_clause 0x1
	buffer_load_dword v20, off, s[20:23], 0 offset:28
	buffer_load_dword v21, off, s[20:23], 0 offset:32
	v_mul_f32_e32 v15, v208, v10
	v_fma_f32 v39, v207, v11, -v15
	s_waitcnt lgkmcnt(1)
	v_mul_f32_e32 v40, v210, v3
	v_mul_f32_e32 v15, v210, v2
	v_fmac_f32_e32 v40, v209, v2
	v_fma_f32 v41, v209, v3, -v15
	v_cvt_f64_f32_e32 v[14:15], v14
	s_waitcnt vmcnt(0)
	v_mul_f32_e32 v19, v21, v9
	v_mul_f32_e32 v13, v21, v8
	v_fmac_f32_e32 v19, v20, v8
	v_fma_f32 v20, v20, v9, -v13
	s_clause 0x1
	buffer_load_dword v8, off, s[20:23], 0 offset:20
	buffer_load_dword v9, off, s[20:23], 0 offset:24
	s_waitcnt vmcnt(0)
	v_mul_f32_e32 v22, v9, v1
	v_mul_f32_e32 v13, v9, v0
	v_mov_b32_e32 v17, v8
	ds_read2_b64 v[8:11], v230 offset0:64 offset1:208
	v_fmac_f32_e32 v22, v17, v0
	v_fma_f32 v24, v17, v1, -v13
	s_clause 0x1
	buffer_load_dword v0, off, s[20:23], 0 offset:12
	buffer_load_dword v1, off, s[20:23], 0 offset:16
	v_cvt_f64_f32_e32 v[16:17], v16
	s_waitcnt lgkmcnt(0)
	v_mul_f32_e32 v21, v223, v8
	v_mul_f32_e32 v32, v214, v10
	;; [unrolled: 1-line block ×3, first 2 shown]
	v_fma_f32 v45, v213, v11, -v32
	v_fmac_f32_e32 v44, v213, v10
	s_waitcnt vmcnt(0)
	v_mul_f32_e32 v27, v1, v5
	v_mul_f32_e32 v2, v1, v4
	v_mov_b32_e32 v3, v0
	s_clause 0x5
	buffer_load_dword v0, off, s[20:23], 0
	buffer_load_dword v1, off, s[20:23], 0 offset:4
	buffer_load_dword v30, off, s[20:23], 0 offset:44
	;; [unrolled: 1-line block ×5, first 2 shown]
	v_fmac_f32_e32 v27, v3, v4
	v_fma_f32 v29, v3, v5, -v2
	s_waitcnt vmcnt(5)
	v_mov_b32_e32 v13, v0
	s_waitcnt vmcnt(2)
	v_mul_f32_e32 v4, v31, v6
	s_waitcnt vmcnt(1)
	v_mad_u64_u32 v[2:3], null, s0, v25, 0
	v_mul_f32_e32 v42, v31, v7
	v_mad_u64_u32 v[0:1], null, s2, v13, 0
	v_fma_f32 v43, v30, v7, -v4
	v_fma_f32 v31, v222, v9, -v21
	v_fmac_f32_e32 v42, v30, v6
	v_mul_f32_e32 v30, v223, v9
	v_cvt_f64_f32_e32 v[20:21], v20
	v_mad_u64_u32 v[4:5], null, s3, v13, v[1:2]
	v_cvt_f64_f32_e32 v[12:13], v12
	v_mov_b32_e32 v1, v3
	s_waitcnt vmcnt(0)
	v_mad_u64_u32 v[5:6], null, s0, v23, 0
	v_fmac_f32_e32 v30, v222, v8
	s_mov_b32 s2, 0xbda12f68
	v_mad_u64_u32 v[7:8], null, s1, v25, v[1:2]
	v_mov_b32_e32 v1, v4
	s_mov_b32 s3, 0x3f32f684
	v_mov_b32_e32 v4, v6
	v_mul_f64 v[14:15], v[14:15], s[2:3]
	v_mul_f64 v[16:17], v[16:17], s[2:3]
	v_cvt_f64_f32_e32 v[8:9], v18
	v_mov_b32_e32 v3, v7
	v_mad_u64_u32 v[6:7], null, s1, v23, v[4:5]
	v_cvt_f64_f32_e32 v[18:19], v19
	v_cvt_f64_f32_e32 v[22:23], v22
	v_cvt_f64_f32_e32 v[24:25], v24
	v_lshlrev_b64 v[0:1], 3, v[0:1]
	v_lshlrev_b64 v[2:3], 3, v[2:3]
	v_mul_f64 v[12:13], v[12:13], s[2:3]
	v_add_co_u32 v32, vcc_lo, s4, v0
	v_add_co_ci_u32_e32 v33, vcc_lo, s5, v1, vcc_lo
	s_mul_i32 s4, s1, 0x1200
	v_add_co_u32 v0, vcc_lo, v32, v2
	v_add_co_ci_u32_e32 v1, vcc_lo, v33, v3, vcc_lo
	v_lshlrev_b64 v[2:3], 3, v[5:6]
	v_cvt_f32_f64_e32 v6, v[16:17]
	v_mul_f64 v[7:8], v[8:9], s[2:3]
	v_mul_f64 v[9:10], v[20:21], s[2:3]
	;; [unrolled: 1-line block ×5, first 2 shown]
	v_cvt_f64_f32_e32 v[22:23], v30
	v_cvt_f64_f32_e32 v[24:25], v31
	v_cvt_f32_f64_e32 v11, v[12:13]
	v_cvt_f32_f64_e32 v12, v[14:15]
	v_cvt_f64_f32_e32 v[13:14], v27
	v_cvt_f64_f32_e32 v[15:16], v29
	;; [unrolled: 1-line block ×4, first 2 shown]
	s_mul_hi_u32 s5, s0, 0x1200
	s_add_i32 s4, s5, s4
	s_mul_i32 s5, s0, 0x1200
	v_add_co_u32 v30, vcc_lo, v0, s5
	v_add_co_ci_u32_e32 v31, vcc_lo, s4, v1, vcc_lo
	v_cvt_f32_f64_e32 v7, v[7:8]
	v_add_co_u32 v17, vcc_lo, v30, s5
	v_cvt_f32_f64_e32 v4, v[4:5]
	v_cvt_f32_f64_e32 v5, v[9:10]
	v_cvt_f32_f64_e32 v8, v[18:19]
	v_cvt_f32_f64_e32 v9, v[20:21]
	v_mul_f64 v[19:20], v[22:23], s[2:3]
	v_mul_f64 v[21:22], v[24:25], s[2:3]
	;; [unrolled: 1-line block ×6, first 2 shown]
	v_add_co_ci_u32_e32 v18, vcc_lo, s4, v31, vcc_lo
	v_add_co_u32 v23, vcc_lo, v17, s5
	v_add_co_ci_u32_e32 v24, vcc_lo, s4, v18, vcc_lo
	v_add_co_u32 v32, vcc_lo, v32, v2
	v_add_co_ci_u32_e32 v33, vcc_lo, v33, v3, vcc_lo
	v_mad_u64_u32 v[36:37], null, 0x2400, s0, v[23:24]
	v_cvt_f64_f32_e32 v[2:3], v34
	global_store_dwordx2 v[0:1], v[11:12], off
	global_store_dwordx2 v[30:31], v[6:7], off
	;; [unrolled: 1-line block ×4, first 2 shown]
	v_cvt_f64_f32_e32 v[34:35], v35
	v_cvt_f32_f64_e32 v10, v[19:20]
	v_cvt_f32_f64_e32 v11, v[21:22]
	v_cvt_f32_f64_e32 v8, v[13:14]
	v_cvt_f32_f64_e32 v9, v[15:16]
	v_mov_b32_e32 v0, v37
	v_cvt_f32_f64_e32 v12, v[25:26]
	v_cvt_f32_f64_e32 v13, v[27:28]
	s_mulk_i32 s0, 0xaa80
	ds_read2_b64 v[4:7], v250 offset0:96 offset1:240
	v_mad_u64_u32 v[0:1], null, 0x2400, s1, v[0:1]
	s_mulk_i32 s1, 0xaa80
	v_add_co_u32 v22, vcc_lo, v36, s0
	s_add_i32 s1, s6, s1
	v_cvt_f64_f32_e32 v[14:15], v38
	v_cvt_f64_f32_e32 v[16:17], v39
	v_mov_b32_e32 v37, v0
	v_cvt_f64_f32_e32 v[24:25], v40
	v_mul_f64 v[18:19], v[2:3], s[2:3]
	ds_read2_b64 v[0:3], v255 offset0:32 offset1:176
	v_mul_f64 v[20:21], v[34:35], s[2:3]
	v_add_co_ci_u32_e32 v23, vcc_lo, s1, v37, vcc_lo
	global_store_dwordx2 v[32:33], v[8:9], off
	global_store_dwordx2 v[36:37], v[10:11], off
	;; [unrolled: 1-line block ×3, first 2 shown]
	s_clause 0x1
	buffer_load_dword v35, off, s[20:23], 0 offset:108
	buffer_load_dword v36, off, s[20:23], 0 offset:112
	v_cvt_f64_f32_e32 v[26:27], v41
	v_cvt_f64_f32_e32 v[30:31], v43
	;; [unrolled: 1-line block ×4, first 2 shown]
	v_mul_f64 v[8:9], v[14:15], s[2:3]
	v_mul_f64 v[10:11], v[16:17], s[2:3]
	v_cvt_f64_f32_e32 v[16:17], v45
	s_waitcnt lgkmcnt(0)
	v_mul_f32_e32 v32, v221, v1
	v_cvt_f32_f64_e32 v14, v[18:19]
	v_mul_f32_e32 v33, v221, v0
	v_cvt_f32_f64_e32 v15, v[20:21]
	v_add_co_u32 v18, vcc_lo, v22, s5
	v_fmac_f32_e32 v32, v220, v0
	v_add_co_ci_u32_e32 v19, vcc_lo, s4, v23, vcc_lo
	v_mul_f64 v[20:21], v[24:25], s[2:3]
	v_mul_f64 v[22:23], v[26:27], s[2:3]
	;; [unrolled: 1-line block ×3, first 2 shown]
	v_fma_f32 v30, v220, v1, -v33
	v_mul_f64 v[24:25], v[28:29], s[2:3]
	v_cvt_f64_f32_e32 v[28:29], v32
	v_cvt_f64_f32_e32 v[30:31], v30
	v_cvt_f32_f64_e32 v1, v[10:11]
	v_mul_f64 v[16:17], v[16:17], s[2:3]
	global_store_dwordx2 v[18:19], v[14:15], off
	v_cvt_f32_f64_e32 v38, v[20:21]
	v_cvt_f32_f64_e32 v39, v[22:23]
	v_cvt_f32_f64_e32 v24, v[24:25]
	v_cvt_f32_f64_e32 v25, v[26:27]
	s_waitcnt vmcnt(0)
	v_mul_f32_e32 v34, v36, v5
	v_mul_f32_e32 v0, v36, v4
	v_add_co_u32 v36, vcc_lo, v18, s5
	v_add_co_ci_u32_e32 v37, vcc_lo, s4, v19, vcc_lo
	v_fmac_f32_e32 v34, v35, v4
	v_fma_f32 v35, v35, v5, -v0
	v_cvt_f32_f64_e32 v0, v[8:9]
	ds_read2_b64 v[8:11], v246 offset0:32 offset1:176
	v_mul_f64 v[4:5], v[12:13], s[2:3]
	ds_read2_b64 v[12:15], v249 offset0:96 offset1:240
	v_cvt_f64_f32_e32 v[32:33], v34
	v_cvt_f64_f32_e32 v[34:35], v35
	v_add_co_u32 v26, vcc_lo, v36, s5
	v_add_co_ci_u32_e32 v27, vcc_lo, s4, v37, vcc_lo
	v_add_co_u32 v42, vcc_lo, v26, s5
	v_add_co_ci_u32_e32 v43, vcc_lo, s4, v27, vcc_lo
	s_waitcnt lgkmcnt(1)
	v_mul_f32_e32 v20, v234, v9
	v_mul_f32_e32 v18, v234, v8
	s_waitcnt lgkmcnt(0)
	v_mul_f32_e32 v44, v227, v13
	v_mul_f32_e32 v22, v227, v12
	v_cvt_f32_f64_e32 v4, v[4:5]
	v_fmac_f32_e32 v20, v233, v8
	v_fma_f32 v21, v233, v9, -v18
	v_mul_f64 v[8:9], v[28:29], s[2:3]
	v_mul_f64 v[28:29], v[30:31], s[2:3]
	v_cvt_f32_f64_e32 v5, v[16:17]
	ds_read2_b64 v[16:19], v245 offset0:32 offset1:176
	v_mul_f64 v[30:31], v[32:33], s[2:3]
	v_mul_f64 v[32:33], v[34:35], s[2:3]
	v_fmac_f32_e32 v44, v226, v12
	v_cvt_f64_f32_e32 v[34:35], v20
	v_cvt_f64_f32_e32 v[40:41], v21
	v_fma_f32 v46, v226, v13, -v22
	ds_read2_b64 v[20:23], v240 offset0:96 offset1:240
	v_cvt_f64_f32_e32 v[44:45], v44
	v_add_co_u32 v12, vcc_lo, v42, s5
	v_cvt_f64_f32_e32 v[46:47], v46
	v_add_co_ci_u32_e32 v13, vcc_lo, s4, v43, vcc_lo
	global_store_dwordx2 v[36:37], v[0:1], off
	global_store_dwordx2 v[26:27], v[38:39], off
	;; [unrolled: 1-line block ×4, first 2 shown]
	v_cvt_f32_f64_e32 v0, v[8:9]
	v_cvt_f32_f64_e32 v1, v[28:29]
	s_waitcnt lgkmcnt(1)
	v_mul_f32_e32 v28, v232, v17
	v_mul_f32_e32 v26, v232, v16
	v_cvt_f32_f64_e32 v4, v[30:31]
	v_cvt_f32_f64_e32 v5, v[32:33]
	v_add_co_u32 v12, vcc_lo, v12, s0
	s_waitcnt lgkmcnt(0)
	v_mul_f32_e32 v32, v229, v21
	v_fmac_f32_e32 v28, v231, v16
	v_mul_f32_e32 v29, v229, v20
	v_fma_f32 v30, v231, v17, -v26
	v_mul_f64 v[8:9], v[34:35], s[2:3]
	v_fmac_f32_e32 v32, v228, v20
	v_mul_f64 v[16:17], v[44:45], s[2:3]
	v_mul_f64 v[26:27], v[46:47], s[2:3]
	v_fma_f32 v34, v228, v21, -v29
	v_cvt_f64_f32_e32 v[28:29], v28
	v_cvt_f64_f32_e32 v[30:31], v30
	;; [unrolled: 1-line block ×3, first 2 shown]
	v_add_co_ci_u32_e32 v13, vcc_lo, s1, v13, vcc_lo
	v_add_co_u32 v20, vcc_lo, v12, s5
	v_mul_f64 v[24:25], v[40:41], s[2:3]
	v_add_co_ci_u32_e32 v21, vcc_lo, s4, v13, vcc_lo
	global_store_dwordx2 v[12:13], v[0:1], off
	global_store_dwordx2 v[20:21], v[4:5], off
	v_mul_f32_e32 v12, v225, v2
	v_add_co_u32 v4, vcc_lo, v20, s5
	v_add_co_ci_u32_e32 v5, vcc_lo, s4, v21, vcc_lo
	v_cvt_f32_f64_e32 v0, v[8:9]
	v_cvt_f32_f64_e32 v8, v[16:17]
	;; [unrolled: 1-line block ×3, first 2 shown]
	v_fma_f32 v26, v224, v3, -v12
	v_mul_f64 v[12:13], v[28:29], s[2:3]
	v_mul_f64 v[16:17], v[30:31], s[2:3]
	s_clause 0x1
	buffer_load_dword v29, off, s[20:23], 0 offset:76
	buffer_load_dword v30, off, s[20:23], 0 offset:80
	v_mul_f64 v[20:21], v[32:33], s[2:3]
	s_clause 0x1
	buffer_load_dword v31, off, s[20:23], 0 offset:52
	buffer_load_dword v32, off, s[20:23], 0 offset:56
	v_cvt_f64_f32_e32 v[34:35], v34
	v_mul_f32_e32 v36, v225, v3
	v_cvt_f32_f64_e32 v1, v[24:25]
	v_mul_f32_e32 v37, v254, v18
	v_mul_f32_e32 v38, v238, v23
	;; [unrolled: 1-line block ×3, first 2 shown]
	v_fmac_f32_e32 v36, v224, v2
	v_add_co_u32 v2, vcc_lo, v4, s5
	v_fma_f32 v37, v253, v19, -v37
	v_fmac_f32_e32 v38, v237, v22
	v_fma_f32 v39, v237, v23, -v39
	v_add_co_ci_u32_e32 v3, vcc_lo, s4, v5, vcc_lo
	v_cvt_f64_f32_e32 v[22:23], v37
	global_store_dwordx2 v[4:5], v[0:1], off
	global_store_dwordx2 v[2:3], v[8:9], off
	v_mul_f64 v[24:25], v[34:35], s[2:3]
	v_mul_f32_e32 v34, v236, v15
	v_cvt_f32_f64_e32 v0, v[12:13]
	v_cvt_f32_f64_e32 v1, v[16:17]
	;; [unrolled: 1-line block ×3, first 2 shown]
	v_add_co_u32 v2, vcc_lo, v2, s5
	v_fmac_f32_e32 v34, v235, v14
	v_mul_f32_e32 v14, v236, v14
	v_add_co_ci_u32_e32 v3, vcc_lo, s4, v3, vcc_lo
	v_mul_f64 v[22:23], v[22:23], s[2:3]
	v_cvt_f64_f32_e32 v[34:35], v34
	v_fma_f32 v14, v235, v15, -v14
	v_cvt_f64_f32_e32 v[14:15], v14
	v_cvt_f32_f64_e32 v13, v[24:25]
	global_store_dwordx2 v[2:3], v[0:1], off
	v_mul_f64 v[24:25], v[34:35], s[2:3]
	v_mul_f64 v[14:15], v[14:15], s[2:3]
	s_waitcnt vmcnt(2)
	v_mul_f32_e32 v28, v30, v7
	v_mul_f32_e32 v27, v30, v6
	v_mov_b32_e32 v33, v29
	s_waitcnt vmcnt(0)
	v_mul_f32_e32 v30, v32, v11
	v_mul_f32_e32 v29, v32, v10
	v_mov_b32_e32 v32, v31
	v_fmac_f32_e32 v28, v33, v6
	v_fma_f32 v31, v33, v7, -v27
	v_cvt_f64_f32_e32 v[6:7], v36
	v_mul_f32_e32 v36, v254, v19
	v_cvt_f64_f32_e32 v[26:27], v26
	v_fmac_f32_e32 v30, v32, v10
	v_fma_f32 v32, v32, v11, -v29
	v_cvt_f64_f32_e32 v[10:11], v28
	v_fmac_f32_e32 v36, v253, v18
	v_cvt_f64_f32_e32 v[28:29], v31
	v_cvt_f64_f32_e32 v[30:31], v30
	;; [unrolled: 1-line block ×6, first 2 shown]
	v_mul_f64 v[4:5], v[6:7], s[2:3]
	v_mul_f64 v[6:7], v[26:27], s[2:3]
	;; [unrolled: 1-line block ×6, first 2 shown]
	v_add_co_u32 v30, vcc_lo, v2, s5
	v_mul_f64 v[18:19], v[18:19], s[2:3]
	v_mul_f64 v[26:27], v[36:37], s[2:3]
	;; [unrolled: 1-line block ×3, first 2 shown]
	v_add_co_ci_u32_e32 v31, vcc_lo, s4, v3, vcc_lo
	global_store_dwordx2 v[30:31], v[12:13], off
	v_cvt_f32_f64_e32 v4, v[4:5]
	v_cvt_f32_f64_e32 v5, v[6:7]
	v_add_co_u32 v6, vcc_lo, v30, s0
	v_add_co_ci_u32_e32 v7, vcc_lo, s1, v31, vcc_lo
	v_cvt_f32_f64_e32 v8, v[8:9]
	v_cvt_f32_f64_e32 v9, v[10:11]
	v_add_co_u32 v10, vcc_lo, v6, s5
	v_add_co_ci_u32_e32 v11, vcc_lo, s4, v7, vcc_lo
	v_cvt_f32_f64_e32 v16, v[16:17]
	v_cvt_f32_f64_e32 v17, v[20:21]
	;; [unrolled: 1-line block ×8, first 2 shown]
	v_add_co_u32 v22, vcc_lo, v10, s5
	v_add_co_ci_u32_e32 v23, vcc_lo, s4, v11, vcc_lo
	global_store_dwordx2 v[6:7], v[4:5], off
	v_add_co_u32 v0, vcc_lo, v22, s5
	v_add_co_ci_u32_e32 v1, vcc_lo, s4, v23, vcc_lo
	v_add_co_u32 v2, vcc_lo, v0, s5
	v_add_co_ci_u32_e32 v3, vcc_lo, s4, v1, vcc_lo
	;; [unrolled: 2-line block ×3, first 2 shown]
	global_store_dwordx2 v[10:11], v[8:9], off
	global_store_dwordx2 v[22:23], v[16:17], off
	;; [unrolled: 1-line block ×5, first 2 shown]
.LBB0_2:
	s_endpgm
	.section	.rodata,"a",@progbits
	.p2align	6, 0x0
	.amdhsa_kernel bluestein_single_back_len3456_dim1_sp_op_CI_CI
		.amdhsa_group_segment_fixed_size 27648
		.amdhsa_private_segment_fixed_size 184
		.amdhsa_kernarg_size 104
		.amdhsa_user_sgpr_count 6
		.amdhsa_user_sgpr_private_segment_buffer 1
		.amdhsa_user_sgpr_dispatch_ptr 0
		.amdhsa_user_sgpr_queue_ptr 0
		.amdhsa_user_sgpr_kernarg_segment_ptr 1
		.amdhsa_user_sgpr_dispatch_id 0
		.amdhsa_user_sgpr_flat_scratch_init 0
		.amdhsa_user_sgpr_private_segment_size 0
		.amdhsa_wavefront_size32 1
		.amdhsa_uses_dynamic_stack 0
		.amdhsa_system_sgpr_private_segment_wavefront_offset 1
		.amdhsa_system_sgpr_workgroup_id_x 1
		.amdhsa_system_sgpr_workgroup_id_y 0
		.amdhsa_system_sgpr_workgroup_id_z 0
		.amdhsa_system_sgpr_workgroup_info 0
		.amdhsa_system_vgpr_workitem_id 0
		.amdhsa_next_free_vgpr 256
		.amdhsa_next_free_sgpr 24
		.amdhsa_reserve_vcc 1
		.amdhsa_reserve_flat_scratch 0
		.amdhsa_float_round_mode_32 0
		.amdhsa_float_round_mode_16_64 0
		.amdhsa_float_denorm_mode_32 3
		.amdhsa_float_denorm_mode_16_64 3
		.amdhsa_dx10_clamp 1
		.amdhsa_ieee_mode 1
		.amdhsa_fp16_overflow 0
		.amdhsa_workgroup_processor_mode 1
		.amdhsa_memory_ordered 1
		.amdhsa_forward_progress 0
		.amdhsa_shared_vgpr_count 0
		.amdhsa_exception_fp_ieee_invalid_op 0
		.amdhsa_exception_fp_denorm_src 0
		.amdhsa_exception_fp_ieee_div_zero 0
		.amdhsa_exception_fp_ieee_overflow 0
		.amdhsa_exception_fp_ieee_underflow 0
		.amdhsa_exception_fp_ieee_inexact 0
		.amdhsa_exception_int_div_zero 0
	.end_amdhsa_kernel
	.text
.Lfunc_end0:
	.size	bluestein_single_back_len3456_dim1_sp_op_CI_CI, .Lfunc_end0-bluestein_single_back_len3456_dim1_sp_op_CI_CI
                                        ; -- End function
	.section	.AMDGPU.csdata,"",@progbits
; Kernel info:
; codeLenInByte = 22320
; NumSgprs: 26
; NumVgprs: 256
; ScratchSize: 184
; MemoryBound: 0
; FloatMode: 240
; IeeeMode: 1
; LDSByteSize: 27648 bytes/workgroup (compile time only)
; SGPRBlocks: 3
; VGPRBlocks: 31
; NumSGPRsForWavesPerEU: 26
; NumVGPRsForWavesPerEU: 256
; Occupancy: 4
; WaveLimiterHint : 1
; COMPUTE_PGM_RSRC2:SCRATCH_EN: 1
; COMPUTE_PGM_RSRC2:USER_SGPR: 6
; COMPUTE_PGM_RSRC2:TRAP_HANDLER: 0
; COMPUTE_PGM_RSRC2:TGID_X_EN: 1
; COMPUTE_PGM_RSRC2:TGID_Y_EN: 0
; COMPUTE_PGM_RSRC2:TGID_Z_EN: 0
; COMPUTE_PGM_RSRC2:TIDIG_COMP_CNT: 0
	.text
	.p2alignl 6, 3214868480
	.fill 48, 4, 3214868480
	.type	__hip_cuid_26dce616fee1c200,@object ; @__hip_cuid_26dce616fee1c200
	.section	.bss,"aw",@nobits
	.globl	__hip_cuid_26dce616fee1c200
__hip_cuid_26dce616fee1c200:
	.byte	0                               ; 0x0
	.size	__hip_cuid_26dce616fee1c200, 1

	.ident	"AMD clang version 19.0.0git (https://github.com/RadeonOpenCompute/llvm-project roc-6.4.0 25133 c7fe45cf4b819c5991fe208aaa96edf142730f1d)"
	.section	".note.GNU-stack","",@progbits
	.addrsig
	.addrsig_sym __hip_cuid_26dce616fee1c200
	.amdgpu_metadata
---
amdhsa.kernels:
  - .args:
      - .actual_access:  read_only
        .address_space:  global
        .offset:         0
        .size:           8
        .value_kind:     global_buffer
      - .actual_access:  read_only
        .address_space:  global
        .offset:         8
        .size:           8
        .value_kind:     global_buffer
      - .actual_access:  read_only
        .address_space:  global
        .offset:         16
        .size:           8
        .value_kind:     global_buffer
      - .actual_access:  read_only
        .address_space:  global
        .offset:         24
        .size:           8
        .value_kind:     global_buffer
      - .actual_access:  read_only
        .address_space:  global
        .offset:         32
        .size:           8
        .value_kind:     global_buffer
      - .offset:         40
        .size:           8
        .value_kind:     by_value
      - .address_space:  global
        .offset:         48
        .size:           8
        .value_kind:     global_buffer
      - .address_space:  global
        .offset:         56
        .size:           8
        .value_kind:     global_buffer
      - .address_space:  global
        .offset:         64
        .size:           8
        .value_kind:     global_buffer
      - .address_space:  global
        .offset:         72
        .size:           8
        .value_kind:     global_buffer
      - .offset:         80
        .size:           4
        .value_kind:     by_value
      - .address_space:  global
        .offset:         88
        .size:           8
        .value_kind:     global_buffer
      - .address_space:  global
        .offset:         96
        .size:           8
        .value_kind:     global_buffer
    .group_segment_fixed_size: 27648
    .kernarg_segment_align: 8
    .kernarg_segment_size: 104
    .language:       OpenCL C
    .language_version:
      - 2
      - 0
    .max_flat_workgroup_size: 144
    .name:           bluestein_single_back_len3456_dim1_sp_op_CI_CI
    .private_segment_fixed_size: 184
    .sgpr_count:     26
    .sgpr_spill_count: 0
    .symbol:         bluestein_single_back_len3456_dim1_sp_op_CI_CI.kd
    .uniform_work_group_size: 1
    .uses_dynamic_stack: false
    .vgpr_count:     256
    .vgpr_spill_count: 45
    .wavefront_size: 32
    .workgroup_processor_mode: 1
amdhsa.target:   amdgcn-amd-amdhsa--gfx1030
amdhsa.version:
  - 1
  - 2
...

	.end_amdgpu_metadata
